;; amdgpu-corpus repo=ROCm/rocFFT kind=compiled arch=gfx1030 opt=O3
	.text
	.amdgcn_target "amdgcn-amd-amdhsa--gfx1030"
	.amdhsa_code_object_version 6
	.protected	fft_rtc_back_len3456_factors_6_6_6_4_4_wgs_144_tpt_144_halfLds_sp_op_CI_CI_sbrr_dirReg ; -- Begin function fft_rtc_back_len3456_factors_6_6_6_4_4_wgs_144_tpt_144_halfLds_sp_op_CI_CI_sbrr_dirReg
	.globl	fft_rtc_back_len3456_factors_6_6_6_4_4_wgs_144_tpt_144_halfLds_sp_op_CI_CI_sbrr_dirReg
	.p2align	8
	.type	fft_rtc_back_len3456_factors_6_6_6_4_4_wgs_144_tpt_144_halfLds_sp_op_CI_CI_sbrr_dirReg,@function
fft_rtc_back_len3456_factors_6_6_6_4_4_wgs_144_tpt_144_halfLds_sp_op_CI_CI_sbrr_dirReg: ; @fft_rtc_back_len3456_factors_6_6_6_4_4_wgs_144_tpt_144_halfLds_sp_op_CI_CI_sbrr_dirReg
; %bb.0:
	s_clause 0x2
	s_load_dwordx4 s[16:19], s[4:5], 0x18
	s_load_dwordx4 s[12:15], s[4:5], 0x0
	;; [unrolled: 1-line block ×3, first 2 shown]
	v_mul_u32_u24_e32 v1, 0x1c8, v0
	v_mov_b32_e32 v5, 0
	v_mov_b32_e32 v49, 0
	;; [unrolled: 1-line block ×3, first 2 shown]
	s_waitcnt lgkmcnt(0)
	s_load_dwordx2 s[20:21], s[16:17], 0x0
	s_load_dwordx2 s[2:3], s[18:19], 0x0
	v_cmp_lt_u64_e64 s0, s[14:15], 2
	v_add_nc_u32_sdwa v7, s6, v1 dst_sel:DWORD dst_unused:UNUSED_PAD src0_sel:DWORD src1_sel:WORD_1
	v_mov_b32_e32 v8, v5
	s_and_b32 vcc_lo, exec_lo, s0
	s_cbranch_vccnz .LBB0_8
; %bb.1:
	s_load_dwordx2 s[0:1], s[4:5], 0x10
	v_mov_b32_e32 v49, 0
	v_mov_b32_e32 v50, 0
	s_add_u32 s6, s18, 8
	s_addc_u32 s7, s19, 0
	v_mov_b32_e32 v1, v49
	s_add_u32 s22, s16, 8
	v_mov_b32_e32 v2, v50
	s_addc_u32 s23, s17, 0
	s_mov_b64 s[26:27], 1
	s_waitcnt lgkmcnt(0)
	s_add_u32 s24, s0, 8
	s_addc_u32 s25, s1, 0
.LBB0_2:                                ; =>This Inner Loop Header: Depth=1
	s_load_dwordx2 s[28:29], s[24:25], 0x0
                                        ; implicit-def: $vgpr3_vgpr4
	s_mov_b32 s0, exec_lo
	s_waitcnt lgkmcnt(0)
	v_or_b32_e32 v6, s29, v8
	v_cmpx_ne_u64_e32 0, v[5:6]
	s_xor_b32 s1, exec_lo, s0
	s_cbranch_execz .LBB0_4
; %bb.3:                                ;   in Loop: Header=BB0_2 Depth=1
	v_cvt_f32_u32_e32 v3, s28
	v_cvt_f32_u32_e32 v4, s29
	s_sub_u32 s0, 0, s28
	s_subb_u32 s30, 0, s29
	v_fmac_f32_e32 v3, 0x4f800000, v4
	v_rcp_f32_e32 v3, v3
	v_mul_f32_e32 v3, 0x5f7ffffc, v3
	v_mul_f32_e32 v4, 0x2f800000, v3
	v_trunc_f32_e32 v4, v4
	v_fmac_f32_e32 v3, 0xcf800000, v4
	v_cvt_u32_f32_e32 v4, v4
	v_cvt_u32_f32_e32 v3, v3
	v_mul_lo_u32 v6, s0, v4
	v_mul_hi_u32 v9, s0, v3
	v_mul_lo_u32 v10, s30, v3
	v_add_nc_u32_e32 v6, v9, v6
	v_mul_lo_u32 v9, s0, v3
	v_add_nc_u32_e32 v6, v6, v10
	v_mul_hi_u32 v10, v3, v9
	v_mul_lo_u32 v11, v3, v6
	v_mul_hi_u32 v12, v3, v6
	v_mul_hi_u32 v13, v4, v9
	v_mul_lo_u32 v9, v4, v9
	v_mul_hi_u32 v14, v4, v6
	v_mul_lo_u32 v6, v4, v6
	v_add_co_u32 v10, vcc_lo, v10, v11
	v_add_co_ci_u32_e32 v11, vcc_lo, 0, v12, vcc_lo
	v_add_co_u32 v9, vcc_lo, v10, v9
	v_add_co_ci_u32_e32 v9, vcc_lo, v11, v13, vcc_lo
	v_add_co_ci_u32_e32 v10, vcc_lo, 0, v14, vcc_lo
	v_add_co_u32 v6, vcc_lo, v9, v6
	v_add_co_ci_u32_e32 v9, vcc_lo, 0, v10, vcc_lo
	v_add_co_u32 v3, vcc_lo, v3, v6
	v_add_co_ci_u32_e32 v4, vcc_lo, v4, v9, vcc_lo
	v_mul_hi_u32 v6, s0, v3
	v_mul_lo_u32 v10, s30, v3
	v_mul_lo_u32 v9, s0, v4
	v_add_nc_u32_e32 v6, v6, v9
	v_mul_lo_u32 v9, s0, v3
	v_add_nc_u32_e32 v6, v6, v10
	v_mul_hi_u32 v10, v3, v9
	v_mul_lo_u32 v11, v3, v6
	v_mul_hi_u32 v12, v3, v6
	v_mul_hi_u32 v13, v4, v9
	v_mul_lo_u32 v9, v4, v9
	v_mul_hi_u32 v14, v4, v6
	v_mul_lo_u32 v6, v4, v6
	v_add_co_u32 v10, vcc_lo, v10, v11
	v_add_co_ci_u32_e32 v11, vcc_lo, 0, v12, vcc_lo
	v_add_co_u32 v9, vcc_lo, v10, v9
	v_add_co_ci_u32_e32 v9, vcc_lo, v11, v13, vcc_lo
	v_add_co_ci_u32_e32 v10, vcc_lo, 0, v14, vcc_lo
	v_add_co_u32 v6, vcc_lo, v9, v6
	v_add_co_ci_u32_e32 v9, vcc_lo, 0, v10, vcc_lo
	v_add_co_u32 v6, vcc_lo, v3, v6
	v_add_co_ci_u32_e32 v11, vcc_lo, v4, v9, vcc_lo
	v_mul_hi_u32 v13, v7, v6
	v_mad_u64_u32 v[9:10], null, v8, v6, 0
	v_mad_u64_u32 v[3:4], null, v7, v11, 0
	v_mad_u64_u32 v[11:12], null, v8, v11, 0
	v_add_co_u32 v3, vcc_lo, v13, v3
	v_add_co_ci_u32_e32 v4, vcc_lo, 0, v4, vcc_lo
	v_add_co_u32 v3, vcc_lo, v3, v9
	v_add_co_ci_u32_e32 v3, vcc_lo, v4, v10, vcc_lo
	v_add_co_ci_u32_e32 v4, vcc_lo, 0, v12, vcc_lo
	v_add_co_u32 v6, vcc_lo, v3, v11
	v_add_co_ci_u32_e32 v9, vcc_lo, 0, v4, vcc_lo
	v_mul_lo_u32 v10, s29, v6
	v_mad_u64_u32 v[3:4], null, s28, v6, 0
	v_mul_lo_u32 v11, s28, v9
	v_sub_co_u32 v3, vcc_lo, v7, v3
	v_add3_u32 v4, v4, v11, v10
	v_sub_nc_u32_e32 v10, v8, v4
	v_subrev_co_ci_u32_e64 v10, s0, s29, v10, vcc_lo
	v_add_co_u32 v11, s0, v6, 2
	v_add_co_ci_u32_e64 v12, s0, 0, v9, s0
	v_sub_co_u32 v13, s0, v3, s28
	v_sub_co_ci_u32_e32 v4, vcc_lo, v8, v4, vcc_lo
	v_subrev_co_ci_u32_e64 v10, s0, 0, v10, s0
	v_cmp_le_u32_e32 vcc_lo, s28, v13
	v_cmp_eq_u32_e64 s0, s29, v4
	v_cndmask_b32_e64 v13, 0, -1, vcc_lo
	v_cmp_le_u32_e32 vcc_lo, s29, v10
	v_cndmask_b32_e64 v14, 0, -1, vcc_lo
	v_cmp_le_u32_e32 vcc_lo, s28, v3
	;; [unrolled: 2-line block ×3, first 2 shown]
	v_cndmask_b32_e64 v15, 0, -1, vcc_lo
	v_cmp_eq_u32_e32 vcc_lo, s29, v10
	v_cndmask_b32_e64 v3, v15, v3, s0
	v_cndmask_b32_e32 v10, v14, v13, vcc_lo
	v_add_co_u32 v13, vcc_lo, v6, 1
	v_add_co_ci_u32_e32 v14, vcc_lo, 0, v9, vcc_lo
	v_cmp_ne_u32_e32 vcc_lo, 0, v10
	v_cndmask_b32_e32 v4, v14, v12, vcc_lo
	v_cndmask_b32_e32 v10, v13, v11, vcc_lo
	v_cmp_ne_u32_e32 vcc_lo, 0, v3
	v_cndmask_b32_e32 v4, v9, v4, vcc_lo
	v_cndmask_b32_e32 v3, v6, v10, vcc_lo
.LBB0_4:                                ;   in Loop: Header=BB0_2 Depth=1
	s_andn2_saveexec_b32 s0, s1
	s_cbranch_execz .LBB0_6
; %bb.5:                                ;   in Loop: Header=BB0_2 Depth=1
	v_cvt_f32_u32_e32 v3, s28
	s_sub_i32 s1, 0, s28
	v_rcp_iflag_f32_e32 v3, v3
	v_mul_f32_e32 v3, 0x4f7ffffe, v3
	v_cvt_u32_f32_e32 v3, v3
	v_mul_lo_u32 v4, s1, v3
	v_mul_hi_u32 v4, v3, v4
	v_add_nc_u32_e32 v3, v3, v4
	v_mul_hi_u32 v3, v7, v3
	v_mul_lo_u32 v4, v3, s28
	v_add_nc_u32_e32 v6, 1, v3
	v_sub_nc_u32_e32 v4, v7, v4
	v_subrev_nc_u32_e32 v9, s28, v4
	v_cmp_le_u32_e32 vcc_lo, s28, v4
	v_cndmask_b32_e32 v4, v4, v9, vcc_lo
	v_cndmask_b32_e32 v3, v3, v6, vcc_lo
	v_cmp_le_u32_e32 vcc_lo, s28, v4
	v_add_nc_u32_e32 v6, 1, v3
	v_mov_b32_e32 v4, v5
	v_cndmask_b32_e32 v3, v3, v6, vcc_lo
.LBB0_6:                                ;   in Loop: Header=BB0_2 Depth=1
	s_or_b32 exec_lo, exec_lo, s0
	v_mul_lo_u32 v6, v4, s28
	v_mul_lo_u32 v11, v3, s29
	s_load_dwordx2 s[0:1], s[22:23], 0x0
	v_mad_u64_u32 v[9:10], null, v3, s28, 0
	s_load_dwordx2 s[28:29], s[6:7], 0x0
	s_add_u32 s26, s26, 1
	s_addc_u32 s27, s27, 0
	s_add_u32 s6, s6, 8
	s_addc_u32 s7, s7, 0
	s_add_u32 s22, s22, 8
	v_add3_u32 v6, v10, v11, v6
	v_sub_co_u32 v7, vcc_lo, v7, v9
	s_addc_u32 s23, s23, 0
	s_add_u32 s24, s24, 8
	v_sub_co_ci_u32_e32 v6, vcc_lo, v8, v6, vcc_lo
	s_addc_u32 s25, s25, 0
	s_waitcnt lgkmcnt(0)
	v_mul_lo_u32 v8, s0, v6
	v_mul_lo_u32 v9, s1, v7
	v_mad_u64_u32 v[49:50], null, s0, v7, v[49:50]
	v_mul_lo_u32 v6, s28, v6
	v_mul_lo_u32 v10, s29, v7
	v_mad_u64_u32 v[1:2], null, s28, v7, v[1:2]
	v_cmp_ge_u64_e64 s0, s[26:27], s[14:15]
	v_add3_u32 v50, v9, v50, v8
	v_add3_u32 v2, v10, v2, v6
	s_and_b32 vcc_lo, exec_lo, s0
	s_cbranch_vccnz .LBB0_9
; %bb.7:                                ;   in Loop: Header=BB0_2 Depth=1
	v_mov_b32_e32 v8, v4
	v_mov_b32_e32 v7, v3
	s_branch .LBB0_2
.LBB0_8:
	v_mov_b32_e32 v1, v49
	v_mov_b32_e32 v3, v7
	;; [unrolled: 1-line block ×4, first 2 shown]
.LBB0_9:
	s_load_dwordx2 s[0:1], s[4:5], 0x28
	v_mul_hi_u32 v5, 0x1c71c72, v0
	s_lshl_b64 s[6:7], s[14:15], 3
                                        ; implicit-def: $vgpr54
                                        ; implicit-def: $vgpr56
                                        ; implicit-def: $vgpr57
                                        ; implicit-def: $vgpr58
                                        ; implicit-def: $vgpr55
                                        ; implicit-def: $vgpr59
	s_add_u32 s4, s18, s6
	s_addc_u32 s5, s19, s7
	s_waitcnt lgkmcnt(0)
	v_cmp_gt_u64_e32 vcc_lo, s[0:1], v[3:4]
	v_cmp_le_u64_e64 s0, s[0:1], v[3:4]
	s_and_saveexec_b32 s1, s0
	s_xor_b32 s0, exec_lo, s1
; %bb.10:
	v_mul_u32_u24_e32 v5, 0x90, v5
                                        ; implicit-def: $vgpr49_vgpr50
	v_sub_nc_u32_e32 v54, v0, v5
                                        ; implicit-def: $vgpr5
                                        ; implicit-def: $vgpr0
	v_add_nc_u32_e32 v56, 0x90, v54
	v_add_nc_u32_e32 v57, 0x120, v54
	;; [unrolled: 1-line block ×5, first 2 shown]
; %bb.11:
	s_or_saveexec_b32 s1, s0
                                        ; implicit-def: $vgpr32
                                        ; implicit-def: $vgpr16
                                        ; implicit-def: $vgpr24
                                        ; implicit-def: $vgpr22
                                        ; implicit-def: $vgpr20
                                        ; implicit-def: $vgpr30
                                        ; implicit-def: $vgpr42
                                        ; implicit-def: $vgpr51
                                        ; implicit-def: $vgpr40
                                        ; implicit-def: $vgpr8
                                        ; implicit-def: $vgpr28
                                        ; implicit-def: $vgpr34
                                        ; implicit-def: $vgpr36
                                        ; implicit-def: $vgpr38
                                        ; implicit-def: $vgpr6
                                        ; implicit-def: $vgpr18
                                        ; implicit-def: $vgpr26
                                        ; implicit-def: $vgpr12
                                        ; implicit-def: $vgpr10
                                        ; implicit-def: $vgpr14
                                        ; implicit-def: $vgpr48
                                        ; implicit-def: $vgpr46
                                        ; implicit-def: $vgpr44
                                        ; implicit-def: $vgpr53
	s_xor_b32 exec_lo, exec_lo, s1
	s_cbranch_execz .LBB0_13
; %bb.12:
	s_add_u32 s6, s16, s6
	s_addc_u32 s7, s17, s7
	v_mul_u32_u24_e32 v5, 0x90, v5
	s_load_dwordx2 s[6:7], s[6:7], 0x0
	v_lshlrev_b64 v[7:8], 3, v[49:50]
	v_sub_nc_u32_e32 v54, v0, v5
	v_mad_u64_u32 v[5:6], null, s20, v54, 0
	v_add_nc_u32_e32 v55, 0x240, v54
	v_add_nc_u32_e32 v21, 0x480, v54
	v_add_nc_u32_e32 v22, 0x6c0, v54
	v_or_b32_e32 v23, 0x900, v54
	v_add_nc_u32_e32 v56, 0x90, v54
	v_mad_u64_u32 v[9:10], null, s20, v55, 0
	v_mov_b32_e32 v0, v6
	v_mad_u64_u32 v[11:12], null, s20, v21, 0
	s_waitcnt lgkmcnt(0)
	v_mul_lo_u32 v6, s7, v3
	v_mul_lo_u32 v18, s6, v4
	v_mad_u64_u32 v[13:14], null, s6, v3, 0
	v_mad_u64_u32 v[15:16], null, s21, v54, v[0:1]
	v_mov_b32_e32 v0, v10
	v_mad_u64_u32 v[16:17], null, s20, v22, 0
	v_mov_b32_e32 v10, v12
	v_add3_u32 v14, v14, v18, v6
	v_mad_u64_u32 v[18:19], null, s21, v55, v[0:1]
	v_mov_b32_e32 v6, v15
	v_mad_u64_u32 v[19:20], null, s20, v23, 0
	v_lshlrev_b64 v[12:13], 3, v[13:14]
	v_mad_u64_u32 v[14:15], null, s21, v21, v[10:11]
	v_mov_b32_e32 v0, v17
	v_mov_b32_e32 v10, v18
	v_add_nc_u32_e32 v21, 0xb40, v54
	v_add_co_u32 v15, s0, s8, v12
	v_add_co_ci_u32_e64 v13, s0, s9, v13, s0
	v_mov_b32_e32 v12, v14
	v_add_co_u32 v82, s0, v15, v7
	v_add_co_ci_u32_e64 v83, s0, v13, v8, s0
	v_lshlrev_b64 v[7:8], 3, v[9:10]
	v_mad_u64_u32 v[9:10], null, s21, v22, v[0:1]
	v_mov_b32_e32 v0, v20
	v_lshlrev_b64 v[5:6], 3, v[5:6]
	v_lshlrev_b64 v[10:11], 3, v[11:12]
	v_mad_u64_u32 v[12:13], null, s20, v21, 0
	v_mad_u64_u32 v[14:15], null, s21, v23, v[0:1]
	v_mov_b32_e32 v17, v9
	v_add_co_u32 v5, s0, v82, v5
	v_add_co_ci_u32_e64 v6, s0, v83, v6, s0
	v_lshlrev_b64 v[15:16], 3, v[16:17]
	v_mad_u64_u32 v[17:18], null, s20, v56, 0
	v_add_co_u32 v7, s0, v82, v7
	v_mov_b32_e32 v0, v13
	v_mov_b32_e32 v20, v14
	v_add_nc_u32_e32 v59, 0x2d0, v54
	v_add_co_ci_u32_e64 v8, s0, v83, v8, s0
	v_add_co_u32 v9, s0, v82, v10
	v_add_co_ci_u32_e64 v10, s0, v83, v11, s0
	v_mad_u64_u32 v[13:14], null, s21, v21, v[0:1]
	v_add_co_u32 v21, s0, v82, v15
	v_lshlrev_b64 v[14:15], 3, v[19:20]
	v_mad_u64_u32 v[19:20], null, s20, v59, 0
	v_mov_b32_e32 v0, v18
	v_add_nc_u32_e32 v27, 0x510, v54
	v_add_co_ci_u32_e64 v22, s0, v83, v16, s0
	v_add_co_u32 v25, s0, v82, v14
	v_mad_u64_u32 v[23:24], null, s21, v56, v[0:1]
	v_mov_b32_e32 v0, v20
	v_lshlrev_b64 v[11:12], 3, v[12:13]
	v_mad_u64_u32 v[13:14], null, s20, v27, 0
	v_add_nc_u32_e32 v29, 0x750, v54
	v_add_co_ci_u32_e64 v26, s0, v83, v15, s0
	v_mad_u64_u32 v[15:16], null, s21, v59, v[0:1]
	v_mov_b32_e32 v18, v23
	v_mad_u64_u32 v[23:24], null, s20, v29, 0
	v_mov_b32_e32 v0, v14
	v_add_co_u32 v11, s0, v82, v11
	v_lshlrev_b64 v[16:17], 3, v[17:18]
	v_mov_b32_e32 v20, v15
	v_add_nc_u32_e32 v30, 0x990, v54
	v_mad_u64_u32 v[14:15], null, s21, v27, v[0:1]
	v_mov_b32_e32 v0, v24
	v_add_co_ci_u32_e64 v12, s0, v83, v12, s0
	v_add_co_u32 v27, s0, v82, v16
	v_lshlrev_b64 v[15:16], 3, v[19:20]
	v_add_co_ci_u32_e64 v28, s0, v83, v17, s0
	v_mad_u64_u32 v[17:18], null, s20, v30, 0
	v_mad_u64_u32 v[19:20], null, s21, v29, v[0:1]
	v_add_nc_u32_e32 v29, 0xbd0, v54
	v_add_co_u32 v33, s0, v82, v15
	v_add_co_ci_u32_e64 v34, s0, v83, v16, s0
	v_mad_u64_u32 v[15:16], null, s20, v29, 0
	v_mov_b32_e32 v0, v18
	v_mov_b32_e32 v24, v19
	v_add_nc_u32_e32 v57, 0x120, v54
	v_lshlrev_b64 v[13:14], 3, v[13:14]
	v_add_nc_u32_e32 v31, 0x360, v54
	v_mad_u64_u32 v[18:19], null, s21, v30, v[0:1]
	v_lshlrev_b64 v[19:20], 3, v[23:24]
	v_mov_b32_e32 v0, v16
	v_mad_u64_u32 v[23:24], null, s20, v57, 0
	v_add_co_u32 v13, s0, v82, v13
	v_add_co_ci_u32_e64 v14, s0, v83, v14, s0
	v_mad_u64_u32 v[29:30], null, s21, v29, v[0:1]
	v_add_co_u32 v35, s0, v82, v19
	v_add_co_ci_u32_e64 v36, s0, v83, v20, s0
	v_mad_u64_u32 v[19:20], null, s20, v31, 0
	v_mov_b32_e32 v0, v24
	v_mov_b32_e32 v16, v29
	v_lshlrev_b64 v[17:18], 3, v[17:18]
	v_add_nc_u32_e32 v39, 0x5a0, v54
	v_add_nc_u32_e32 v41, 0xa20, v54
	v_mad_u64_u32 v[29:30], null, s21, v57, v[0:1]
	v_mov_b32_e32 v0, v20
	v_lshlrev_b64 v[15:16], 3, v[15:16]
	v_add_co_u32 v17, s0, v82, v17
	v_add_co_ci_u32_e64 v18, s0, v83, v18, s0
	v_mad_u64_u32 v[31:32], null, s21, v31, v[0:1]
	v_mov_b32_e32 v24, v29
	v_mad_u64_u32 v[29:30], null, s20, v39, 0
	v_add_nc_u32_e32 v32, 0x7e0, v54
	v_add_co_u32 v37, s0, v82, v15
	v_add_co_ci_u32_e64 v38, s0, v83, v16, s0
	v_lshlrev_b64 v[15:16], 3, v[23:24]
	v_mad_u64_u32 v[23:24], null, s20, v32, 0
	v_mov_b32_e32 v0, v30
	v_mov_b32_e32 v20, v31
	v_add_nc_u32_e32 v43, 0xc60, v54
	v_add_co_u32 v47, s0, v82, v15
	v_mad_u64_u32 v[39:40], null, s21, v39, v[0:1]
	v_mov_b32_e32 v0, v24
	v_add_co_ci_u32_e64 v48, s0, v83, v16, s0
	v_lshlrev_b64 v[15:16], 3, v[19:20]
	v_add_nc_u32_e32 v58, 0x1b0, v54
	v_mad_u64_u32 v[19:20], null, s21, v32, v[0:1]
	v_mad_u64_u32 v[31:32], null, s20, v41, 0
	v_mov_b32_e32 v30, v39
	v_mad_u64_u32 v[39:40], null, s20, v43, 0
	v_add_co_u32 v60, s0, v82, v15
	v_add_co_ci_u32_e64 v61, s0, v83, v16, s0
	v_mov_b32_e32 v0, v32
	v_lshlrev_b64 v[15:16], 3, v[29:30]
	v_mov_b32_e32 v24, v19
	v_mov_b32_e32 v19, v40
	v_add_nc_u32_e32 v44, 0x630, v54
	v_mad_u64_u32 v[29:30], null, s21, v41, v[0:1]
	v_add_co_u32 v62, s0, v82, v15
	v_mad_u64_u32 v[19:20], null, s21, v43, v[19:20]
	v_mad_u64_u32 v[41:42], null, s20, v58, 0
	v_add_nc_u32_e32 v43, 0x3f0, v54
	v_add_co_ci_u32_e64 v63, s0, v83, v16, s0
	v_lshlrev_b64 v[15:16], 3, v[23:24]
	v_mov_b32_e32 v32, v29
	v_mad_u64_u32 v[23:24], null, s20, v43, 0
	v_mov_b32_e32 v40, v19
	v_mov_b32_e32 v0, v42
	v_add_co_u32 v64, s0, v82, v15
	v_add_co_ci_u32_e64 v65, s0, v83, v16, s0
	v_lshlrev_b64 v[15:16], 3, v[31:32]
	v_mad_u64_u32 v[29:30], null, s20, v44, 0
	v_lshlrev_b64 v[31:32], 3, v[39:40]
	v_mad_u64_u32 v[19:20], null, s21, v58, v[0:1]
	v_mov_b32_e32 v0, v24
	v_add_co_u32 v66, s0, v82, v15
	v_add_co_ci_u32_e64 v67, s0, v83, v16, s0
	v_mov_b32_e32 v20, v30
	v_mad_u64_u32 v[39:40], null, s21, v43, v[0:1]
	v_add_co_u32 v68, s0, v82, v31
	v_add_nc_u32_e32 v31, 0x870, v54
	v_mov_b32_e32 v42, v19
	v_mad_u64_u32 v[19:20], null, s21, v44, v[20:21]
	v_add_co_ci_u32_e64 v69, s0, v83, v32, s0
	v_add_nc_u32_e32 v32, 0xab0, v54
	v_mad_u64_u32 v[70:71], null, s20, v31, 0
	v_mov_b32_e32 v24, v39
	v_add_nc_u32_e32 v39, 0xcf0, v54
	v_lshlrev_b64 v[15:16], 3, v[41:42]
	v_mad_u64_u32 v[72:73], null, s20, v32, 0
	v_mov_b32_e32 v30, v19
	v_mov_b32_e32 v0, v71
	v_mad_u64_u32 v[76:77], null, s20, v39, 0
	v_add_co_u32 v74, s0, v82, v15
	v_add_co_ci_u32_e64 v75, s0, v83, v16, s0
	v_lshlrev_b64 v[15:16], 3, v[23:24]
	v_lshlrev_b64 v[19:20], 3, v[29:30]
	v_mov_b32_e32 v23, v73
	v_mad_u64_u32 v[29:30], null, s21, v31, v[0:1]
	v_mov_b32_e32 v0, v77
	v_add_co_u32 v78, s0, v82, v15
	v_mad_u64_u32 v[23:24], null, s21, v32, v[23:24]
	v_mad_u64_u32 v[49:50], null, s21, v39, v[0:1]
	v_mov_b32_e32 v71, v29
	v_add_co_ci_u32_e64 v79, s0, v83, v16, s0
	v_add_co_u32 v80, s0, v82, v19
	v_add_co_ci_u32_e64 v81, s0, v83, v20, s0
	v_mov_b32_e32 v73, v23
	s_clause 0xb
	global_load_dwordx2 v[31:32], v[5:6], off
	global_load_dwordx2 v[15:16], v[7:8], off
	;; [unrolled: 1-line block ×12, first 2 shown]
	v_lshlrev_b64 v[5:6], 3, v[70:71]
	v_mov_b32_e32 v77, v49
	s_clause 0x3
	global_load_dwordx2 v[7:8], v[47:48], off
	global_load_dwordx2 v[27:28], v[60:61], off
	;; [unrolled: 1-line block ×4, first 2 shown]
	v_lshlrev_b64 v[9:10], 3, v[72:73]
	v_add_co_u32 v11, s0, v82, v5
	v_add_co_ci_u32_e64 v12, s0, v83, v6, s0
	v_lshlrev_b64 v[5:6], 3, v[76:77]
	v_add_co_u32 v9, s0, v82, v9
	v_add_co_ci_u32_e64 v10, s0, v83, v10, s0
	v_add_co_u32 v60, s0, v82, v5
	v_add_co_ci_u32_e64 v61, s0, v83, v6, s0
	s_clause 0x7
	global_load_dwordx2 v[35:36], v[66:67], off
	global_load_dwordx2 v[37:38], v[68:69], off
	;; [unrolled: 1-line block ×8, first 2 shown]
.LBB0_13:
	s_or_b32 exec_lo, exec_lo, s1
	s_waitcnt vmcnt(19)
	v_add_f32_e32 v0, v23, v21
	s_waitcnt vmcnt(18)
	v_add_f32_e32 v49, v20, v53
	v_add_f32_e32 v60, v31, v23
	v_add_f32_e32 v61, v19, v52
	v_add_f32_e32 v70, v16, v53
	v_fmac_f32_e32 v31, -0.5, v0
	v_fmac_f32_e32 v16, -0.5, v49
	v_sub_f32_e32 v0, v52, v19
	v_add_f32_e32 v52, v15, v52
	v_fmac_f32_e32 v15, -0.5, v61
	v_sub_f32_e32 v53, v53, v20
	v_sub_f32_e32 v49, v24, v22
	v_fmamk_f32 v71, v0, 0x3f5db3d7, v16
	v_fmac_f32_e32 v16, 0xbf5db3d7, v0
	v_add_f32_e32 v60, v60, v21
	v_fmamk_f32 v72, v53, 0xbf5db3d7, v15
	v_fmamk_f32 v62, v49, 0xbf5db3d7, v31
	v_mul_f32_e32 v0, 0xbf5db3d7, v71
	v_fmac_f32_e32 v15, 0x3f5db3d7, v53
	v_mul_f32_e32 v63, 0xbf5db3d7, v16
	v_add_f32_e32 v19, v19, v52
	v_fmac_f32_e32 v31, 0x3f5db3d7, v49
	v_fmac_f32_e32 v0, 0.5, v72
	v_mul_u32_u24_e32 v49, 6, v54
	v_fmac_f32_e32 v63, -0.5, v15
	v_add_f32_e32 v52, v60, v19
	v_sub_f32_e32 v61, v60, v19
	v_add_f32_e32 v53, v62, v0
	v_sub_f32_e32 v62, v62, v0
	s_waitcnt vmcnt(12)
	v_add_f32_e32 v0, v51, v46
	v_add_f32_e32 v60, v31, v63
	v_sub_f32_e32 v63, v31, v63
	v_add_f32_e32 v19, v41, v39
	v_add_f32_e32 v31, v50, v45
	;; [unrolled: 1-line block ×3, first 2 shown]
	v_fmac_f32_e32 v44, -0.5, v0
	v_sub_f32_e32 v0, v50, v45
	v_lshl_add_u32 v73, v49, 2, 0
	v_add_f32_e32 v49, v29, v41
	v_add_f32_e32 v50, v50, v43
	v_fmac_f32_e32 v43, -0.5, v31
	v_sub_f32_e32 v31, v51, v46
	v_fmac_f32_e32 v29, -0.5, v19
	v_fmamk_f32 v75, v0, 0x3f5db3d7, v44
	v_sub_f32_e32 v19, v42, v40
	v_fmac_f32_e32 v44, 0xbf5db3d7, v0
	v_fmamk_f32 v76, v31, 0xbf5db3d7, v43
	v_fmac_f32_e32 v43, 0x3f5db3d7, v31
	v_mul_f32_e32 v31, 0xbf5db3d7, v75
	v_add_f32_e32 v0, v49, v39
	v_add_f32_e32 v45, v45, v50
	v_fmamk_f32 v66, v19, 0xbf5db3d7, v29
	v_fmac_f32_e32 v29, 0x3f5db3d7, v19
	v_mul_i32_i24_e32 v19, 6, v56
	v_fmac_f32_e32 v31, 0.5, v76
	v_add_f32_e32 v49, v0, v45
	v_sub_f32_e32 v65, v0, v45
	s_waitcnt vmcnt(7)
	v_add_f32_e32 v45, v33, v35
	v_lshl_add_u32 v0, v19, 2, 0
	s_waitcnt vmcnt(6)
	v_add_f32_e32 v19, v38, v48
	v_mul_f32_e32 v51, 0xbf5db3d7, v44
	v_add_f32_e32 v50, v66, v31
	v_sub_f32_e32 v66, v66, v31
	v_add_f32_e32 v31, v7, v33
	v_fmac_f32_e32 v7, -0.5, v45
	v_add_f32_e32 v45, v37, v47
	v_add_f32_e32 v77, v28, v48
	v_fmac_f32_e32 v28, -0.5, v19
	v_sub_f32_e32 v19, v47, v37
	v_fmac_f32_e32 v51, -0.5, v43
	v_add_f32_e32 v47, v27, v47
	v_fmac_f32_e32 v27, -0.5, v45
	v_sub_f32_e32 v48, v48, v38
	v_fmamk_f32 v78, v19, 0x3f5db3d7, v28
	v_fmac_f32_e32 v28, 0xbf5db3d7, v19
	v_add_f32_e32 v64, v29, v51
	v_sub_f32_e32 v45, v34, v36
	v_sub_f32_e32 v67, v29, v51
	v_fmamk_f32 v79, v48, 0xbf5db3d7, v27
	v_mul_f32_e32 v51, 0xbf5db3d7, v78
	v_fmac_f32_e32 v27, 0x3f5db3d7, v48
	v_mul_f32_e32 v80, 0xbf5db3d7, v28
	v_fmamk_f32 v19, v45, 0xbf5db3d7, v7
	v_add_f32_e32 v29, v31, v35
	v_add_f32_e32 v31, v37, v47
	v_fmac_f32_e32 v51, 0.5, v79
	v_fmac_f32_e32 v7, 0x3f5db3d7, v45
	v_fmac_f32_e32 v80, -0.5, v27
	v_mul_i32_i24_e32 v37, 6, v57
	v_add_f32_e32 v47, v29, v31
	v_add_f32_e32 v48, v19, v51
	v_sub_f32_e32 v69, v29, v31
	v_add_f32_e32 v68, v7, v80
	v_lshl_add_u32 v29, v37, 2, 0
	ds_write2_b64 v73, v[52:53], v[60:61] offset1:1
	ds_write_b64 v73, v[62:63] offset:16
	ds_write2_b64 v0, v[49:50], v[64:65] offset1:1
	ds_write_b64 v0, v[66:67] offset:16
	ds_write2_b64 v29, v[47:48], v[68:69] offset1:1
	v_sub_f32_e32 v48, v7, v80
	s_waitcnt vmcnt(0)
	v_add_f32_e32 v7, v26, v10
	v_sub_f32_e32 v47, v19, v51
	v_add_f32_e32 v19, v17, v11
	v_add_f32_e32 v31, v5, v17
	v_add_f32_e32 v37, v25, v9
	v_add_f32_e32 v80, v26, v14
	v_fmac_f32_e32 v14, -0.5, v7
	v_sub_f32_e32 v7, v25, v9
	v_add_f32_e32 v25, v25, v13
	v_fmac_f32_e32 v13, -0.5, v37
	v_sub_f32_e32 v26, v26, v10
	v_fmac_f32_e32 v5, -0.5, v19
	v_fmamk_f32 v81, v7, 0x3f5db3d7, v14
	v_sub_f32_e32 v19, v18, v12
	v_fmac_f32_e32 v14, 0xbf5db3d7, v7
	v_add_f32_e32 v31, v31, v11
	v_add_f32_e32 v9, v9, v25
	v_fmamk_f32 v82, v26, 0xbf5db3d7, v13
	v_fmac_f32_e32 v13, 0x3f5db3d7, v26
	v_mul_f32_e32 v7, 0xbf5db3d7, v81
	v_mul_f32_e32 v37, 0xbf5db3d7, v14
	v_fmamk_f32 v51, v19, 0xbf5db3d7, v5
	v_fmac_f32_e32 v5, 0x3f5db3d7, v19
	v_add_f32_e32 v25, v31, v9
	v_mul_i32_i24_e32 v19, 6, v58
	v_sub_f32_e32 v50, v31, v9
	v_add_f32_e32 v9, v24, v22
	v_add_f32_e32 v85, v42, v40
	v_fmac_f32_e32 v7, 0.5, v82
	v_fmac_f32_e32 v37, -0.5, v13
	v_lshl_add_u32 v45, v19, 2, 0
	v_add_f32_e32 v19, v32, v24
	v_sub_f32_e32 v21, v23, v21
	v_fmac_f32_e32 v32, -0.5, v9
	v_mul_f32_e32 v72, 0x3f5db3d7, v72
	v_mul_f32_e32 v84, -0.5, v16
	v_add_f32_e32 v42, v30, v42
	v_sub_f32_e32 v39, v41, v39
	v_mul_f32_e32 v86, -0.5, v44
	v_mul_f32_e32 v76, 0x3f5db3d7, v76
	v_fmac_f32_e32 v30, -0.5, v85
	v_add_f32_e32 v26, v51, v7
	v_add_f32_e32 v49, v5, v37
	;; [unrolled: 1-line block ×4, first 2 shown]
	v_fmamk_f32 v83, v21, 0x3f5db3d7, v32
	v_fmac_f32_e32 v32, 0xbf5db3d7, v21
	v_fmac_f32_e32 v72, 0.5, v71
	v_fmac_f32_e32 v84, 0x3f5db3d7, v15
	v_add_f32_e32 v44, v42, v40
	v_add_f32_e32 v46, v46, v74
	v_fmac_f32_e32 v86, 0x3f5db3d7, v43
	v_fmac_f32_e32 v76, 0.5, v75
	v_fmamk_f32 v74, v39, 0x3f5db3d7, v30
	v_fmac_f32_e32 v30, 0xbf5db3d7, v39
	ds_write_b64 v29, v[47:48] offset:16
	ds_write2_b64 v45, v[25:26], v[49:50] offset1:1
	v_sub_f32_e32 v19, v51, v7
	v_sub_f32_e32 v20, v5, v37
	v_add_f32_e32 v68, v9, v22
	v_add_f32_e32 v69, v83, v72
	v_sub_f32_e32 v71, v9, v22
	v_mad_i32_i24 v31, 0xffffffec, v54, v73
	v_add_f32_e32 v70, v32, v84
	v_mad_i32_i24 v49, 0xffffffec, v57, v29
	v_mad_i32_i24 v48, 0xffffffec, v58, v45
	v_sub_f32_e32 v40, v32, v84
	v_sub_f32_e32 v39, v83, v72
	v_mad_i32_i24 v47, 0xffffffec, v56, v0
	v_add_f32_e32 v41, v44, v46
	v_add_f32_e32 v42, v74, v76
	v_sub_f32_e32 v44, v44, v46
	v_add_f32_e32 v43, v30, v86
	v_lshl_add_u32 v37, v55, 2, 0
	s_load_dwordx2 s[4:5], s[4:5], 0x0
	ds_write_b64 v45, v[19:20] offset:16
	s_waitcnt lgkmcnt(0)
	s_barrier
	buffer_gl0_inv
	ds_read_b32 v65, v31
	v_add_nc_u32_e32 v60, 0xf00, v31
	v_add_nc_u32_e32 v53, 0x1800, v31
	;; [unrolled: 1-line block ×9, first 2 shown]
	ds_read_b32 v7, v49
	ds_read_b32 v5, v48
	;; [unrolled: 1-line block ×4, first 2 shown]
	ds_read_b32 v66, v31 offset:13248
	ds_read2_b32 v[25:26], v60 offset0:48 offset1:192
	ds_read2_b32 v[23:24], v53 offset0:48 offset1:192
	ds_read2_b32 v[21:22], v51 offset0:48 offset1:192
	ds_read2_b32 v[19:20], v50 offset0:48 offset1:192
	ds_read2_b32 v[96:97], v61 offset0:80 offset1:224
	ds_read2_b32 v[98:99], v62 offset0:16 offset1:160
	ds_read2_b32 v[100:101], v63 offset0:80 offset1:224
	ds_read2_b32 v[102:103], v64 offset0:16 offset1:160
	ds_read2_b32 v[15:16], v52 offset0:80 offset1:224
	s_waitcnt lgkmcnt(0)
	s_barrier
	buffer_gl0_inv
	ds_write2_b64 v73, v[68:69], v[70:71] offset1:1
	ds_write_b64 v73, v[39:40] offset:16
	ds_write2_b64 v0, v[41:42], v[43:44] offset1:1
	v_sub_f32_e32 v40, v30, v86
	v_add_f32_e32 v30, v34, v36
	v_add_f32_e32 v32, v8, v34
	v_sub_f32_e32 v33, v33, v35
	v_add_f32_e32 v35, v38, v77
	v_mov_b32_e32 v42, 0xaaab
	v_fmac_f32_e32 v8, -0.5, v30
	v_mul_f32_e32 v30, -0.5, v28
	v_add_f32_e32 v32, v32, v36
	v_sub_f32_e32 v11, v17, v11
	v_mul_f32_e32 v14, -0.5, v14
	v_fmamk_f32 v36, v33, 0x3f5db3d7, v8
	v_fmac_f32_e32 v30, 0x3f5db3d7, v27
	v_fmac_f32_e32 v8, 0xbf5db3d7, v33
	v_add_f32_e32 v27, v32, v35
	v_sub_f32_e32 v33, v32, v35
	v_add_f32_e32 v35, v18, v12
	v_add_f32_e32 v18, v6, v18
	v_mul_u32_u24_sdwa v17, v56, v42 dst_sel:DWORD dst_unused:UNUSED_PAD src0_sel:WORD_0 src1_sel:DWORD
	v_mul_f32_e32 v34, 0x3f5db3d7, v79
	v_add_f32_e32 v32, v8, v30
	v_fmac_f32_e32 v6, -0.5, v35
	v_sub_f32_e32 v35, v8, v30
	v_fmac_f32_e32 v14, 0x3f5db3d7, v13
	v_lshrrev_b32_e32 v8, 18, v17
	v_fmac_f32_e32 v34, 0.5, v78
	v_fmamk_f32 v13, v11, 0x3f5db3d7, v6
	v_fmac_f32_e32 v6, 0xbf5db3d7, v11
	v_mul_f32_e32 v30, 0x3f5db3d7, v82
	v_add_f32_e32 v18, v18, v12
	v_mul_lo_u16 v12, v8, 6
	v_sub_f32_e32 v39, v74, v76
	v_add_f32_e32 v11, v6, v14
	v_sub_f32_e32 v14, v6, v14
	v_mul_u32_u24_sdwa v6, v57, v42 dst_sel:DWORD dst_unused:UNUSED_PAD src0_sel:WORD_0 src1_sel:DWORD
	v_add_f32_e32 v28, v36, v34
	v_sub_f32_e32 v34, v36, v34
	v_add_f32_e32 v36, v10, v80
	v_fmac_f32_e32 v30, 0.5, v81
	v_mov_b32_e32 v17, 5
	v_sub_nc_u16 v10, v56, v12
	v_lshrrev_b32_e32 v6, 18, v6
	ds_write_b64 v0, v[39:40] offset:16
	v_sub_f32_e32 v12, v18, v36
	v_add_f32_e32 v38, v18, v36
	v_add_f32_e32 v39, v13, v30
	v_mul_u32_u24_sdwa v18, v10, v17 dst_sel:DWORD dst_unused:UNUSED_PAD src0_sel:WORD_0 src1_sel:DWORD
	ds_write2_b64 v29, v[27:28], v[32:33] offset1:1
	ds_write_b64 v29, v[34:35] offset:16
	ds_write2_b64 v45, v[38:39], v[11:12] offset1:1
	v_mul_lo_u16 v11, v6, 6
	v_sub_f32_e32 v13, v13, v30
	v_lshlrev_b32_e32 v27, 3, v18
	v_and_b32_e32 v18, 0xff, v54
	v_mul_u32_u24_e32 v8, 0x90, v8
	v_sub_nc_u16 v11, v57, v11
	ds_write_b64 v45, v[13:14] offset:16
	s_waitcnt lgkmcnt(0)
	s_barrier
	buffer_gl0_inv
	s_clause 0x1
	global_load_dwordx4 v[38:41], v27, s[12:13]
	global_load_dwordx4 v[72:75], v27, s[12:13] offset:16
	v_mul_u32_u24_sdwa v12, v11, v17 dst_sel:DWORD dst_unused:UNUSED_PAD src0_sel:WORD_0 src1_sel:DWORD
	v_mul_u32_u24_e32 v6, 0x90, v6
	v_cmp_gt_u32_e64 s0, 0x48, v54
	v_lshlrev_b32_e32 v28, 3, v12
	v_mul_lo_u16 v12, 0xab, v18
	v_mul_lo_u16 v18, v18, 57
	s_clause 0x1
	global_load_dwordx4 v[68:71], v28, s[12:13]
	global_load_dwordx4 v[76:79], v28, s[12:13] offset:16
	v_lshrrev_b16 v14, 10, v12
	v_mul_u32_u24_sdwa v12, v58, v42 dst_sel:DWORD dst_unused:UNUSED_PAD src0_sel:WORD_0 src1_sel:DWORD
	v_mul_lo_u16 v13, v14, 6
	v_lshrrev_b32_e32 v12, 18, v12
	v_sub_nc_u16 v46, v54, v13
	v_mul_lo_u16 v13, v12, 6
	v_mul_u32_u24_sdwa v30, v46, v17 dst_sel:DWORD dst_unused:UNUSED_PAD src0_sel:BYTE_0 src1_sel:DWORD
	v_sub_nc_u16 v13, v58, v13
	v_lshlrev_b32_e32 v30, 3, v30
	v_mul_u32_u24_sdwa v32, v13, v17 dst_sel:DWORD dst_unused:UNUSED_PAD src0_sel:WORD_0 src1_sel:DWORD
	global_load_dwordx4 v[80:83], v30, s[12:13]
	v_lshlrev_b32_e32 v32, 3, v32
	s_clause 0x6
	global_load_dwordx4 v[84:87], v32, s[12:13]
	global_load_dwordx4 v[88:91], v30, s[12:13] offset:16
	global_load_dwordx4 v[92:95], v32, s[12:13] offset:16
	global_load_dwordx2 v[104:105], v30, s[12:13] offset:32
	global_load_dwordx2 v[106:107], v27, s[12:13] offset:32
	;; [unrolled: 1-line block ×4, first 2 shown]
	ds_read2_b32 v[27:28], v61 offset0:80 offset1:224
	ds_read2_b32 v[32:33], v62 offset0:16 offset1:160
	;; [unrolled: 1-line block ×3, first 2 shown]
	s_waitcnt vmcnt(11) lgkmcnt(1)
	v_mul_f32_e32 v36, v32, v41
	v_mul_f32_e32 v35, v98, v41
	ds_read2_b32 v[41:42], v63 offset0:80 offset1:224
	v_mul_f32_e32 v34, v96, v39
	v_mul_f32_e32 v30, v27, v39
	v_fmac_f32_e32 v36, v98, v40
	v_fma_f32 v39, v32, v40, -v35
	s_waitcnt vmcnt(10) lgkmcnt(1)
	v_mul_f32_e32 v40, v43, v75
	v_fma_f32 v34, v27, v38, -v34
	v_fmac_f32_e32 v30, v96, v38
	s_waitcnt vmcnt(9)
	v_mul_f32_e32 v27, v28, v69
	v_mul_f32_e32 v35, v97, v69
	;; [unrolled: 1-line block ×4, first 2 shown]
	v_fmac_f32_e32 v40, v102, v74
	v_fmac_f32_e32 v27, v97, v68
	v_fma_f32 v28, v28, v68, -v35
	ds_read2_b32 v[68:69], v60 offset0:48 offset1:192
	v_fmac_f32_e32 v32, v99, v70
	ds_read_b32 v99, v37
	ds_read2_b32 v[96:97], v53 offset0:48 offset1:192
	s_waitcnt lgkmcnt(3)
	v_mul_f32_e32 v98, v41, v73
	v_mul_f32_e32 v35, v100, v73
	v_fma_f32 v33, v33, v70, -v38
	v_mul_f32_e32 v38, v102, v75
	ds_read2_b32 v[70:71], v51 offset0:48 offset1:192
	v_fmac_f32_e32 v98, v100, v72
	v_fma_f32 v100, v41, v72, -v35
	ds_read2_b32 v[72:73], v50 offset0:48 offset1:192
	s_waitcnt vmcnt(8)
	v_mul_f32_e32 v112, v42, v77
	v_fma_f32 v41, v43, v74, -v38
	v_mul_f32_e32 v38, v101, v77
	v_mul_f32_e32 v35, v44, v79
	;; [unrolled: 1-line block ×3, first 2 shown]
	v_fmac_f32_e32 v112, v101, v76
	v_fma_f32 v76, v42, v76, -v38
	v_fmac_f32_e32 v35, v103, v78
	ds_read_b32 v38, v47
	ds_read_b32 v77, v49
	;; [unrolled: 1-line block ×3, first 2 shown]
	v_fma_f32 v44, v44, v78, -v43
	ds_read_b32 v78, v31 offset:13248
	s_waitcnt vmcnt(7) lgkmcnt(7)
	v_mul_f32_e32 v79, v99, v81
	ds_read2_b32 v[74:75], v52 offset0:80 offset1:224
	v_mul_f32_e32 v81, v67, v81
	v_mul_f32_e32 v101, v69, v83
	;; [unrolled: 1-line block ×3, first 2 shown]
	v_fmac_f32_e32 v79, v67, v80
	s_waitcnt vmcnt(6)
	v_mul_f32_e32 v43, v68, v85
	v_fma_f32 v67, v99, v80, -v81
	v_mul_f32_e32 v80, v25, v85
	v_fmac_f32_e32 v101, v26, v82
	v_fma_f32 v26, v69, v82, -v83
	s_waitcnt lgkmcnt(7)
	v_mul_f32_e32 v69, v96, v87
	v_mul_f32_e32 v81, v23, v87
	s_waitcnt vmcnt(5)
	v_mul_f32_e32 v82, v97, v89
	v_mul_f32_e32 v83, v24, v89
	v_fmac_f32_e32 v43, v25, v84
	s_waitcnt lgkmcnt(6)
	v_mul_f32_e32 v25, v71, v91
	v_mul_f32_e32 v85, v22, v91
	v_fma_f32 v68, v68, v84, -v80
	v_fmac_f32_e32 v69, v23, v86
	v_fma_f32 v23, v96, v86, -v81
	v_fmac_f32_e32 v82, v24, v88
	v_fma_f32 v24, v97, v88, -v83
	s_waitcnt vmcnt(4)
	v_mul_f32_e32 v80, v70, v93
	v_mul_f32_e32 v81, v21, v93
	s_waitcnt lgkmcnt(5)
	v_mul_f32_e32 v83, v72, v95
	v_fmac_f32_e32 v25, v22, v90
	v_fma_f32 v22, v71, v90, -v85
	v_fmac_f32_e32 v80, v21, v92
	v_fma_f32 v21, v70, v92, -v81
	v_mul_f32_e32 v70, v19, v95
	v_fmac_f32_e32 v83, v19, v94
	s_waitcnt vmcnt(3)
	v_mul_f32_e32 v19, v73, v105
	v_mul_f32_e32 v71, v20, v105
	s_waitcnt vmcnt(2)
	v_mul_f32_e32 v84, v15, v107
	s_waitcnt lgkmcnt(0)
	v_mul_f32_e32 v81, v74, v107
	v_fma_f32 v70, v72, v94, -v70
	v_fmac_f32_e32 v19, v20, v104
	v_fma_f32 v20, v73, v104, -v71
	ds_read_b32 v73, v31
	v_fma_f32 v71, v74, v106, -v84
	s_waitcnt vmcnt(0)
	v_mul_f32_e32 v74, v78, v111
	v_mul_f32_e32 v84, v66, v111
	v_fmac_f32_e32 v81, v15, v106
	v_mul_f32_e32 v15, v16, v109
	v_mul_f32_e32 v72, v75, v109
	v_fmac_f32_e32 v74, v66, v110
	v_fma_f32 v66, v78, v110, -v84
	v_add_f32_e32 v78, v24, v20
	v_fma_f32 v75, v75, v108, -v15
	v_add_f32_e32 v15, v101, v25
	v_add_f32_e32 v84, v82, v19
	;; [unrolled: 1-line block ×3, first 2 shown]
	v_fmac_f32_e32 v67, -0.5, v78
	v_sub_f32_e32 v78, v82, v19
	v_fmac_f32_e32 v72, v16, v108
	v_add_f32_e32 v16, v65, v101
	v_fmac_f32_e32 v65, -0.5, v15
	v_add_f32_e32 v85, v79, v82
	v_mov_b32_e32 v82, 0x90
	v_mov_b32_e32 v15, 2
	v_fmac_f32_e32 v79, -0.5, v84
	v_sub_f32_e32 v24, v24, v20
	v_fmamk_f32 v84, v78, 0x3f5db3d7, v67
	v_mul_u32_u24_sdwa v14, v14, v82 dst_sel:DWORD dst_unused:UNUSED_PAD src0_sel:WORD_0 src1_sel:DWORD
	v_lshlrev_b32_sdwa v46, v15, v46 dst_sel:DWORD dst_unused:UNUSED_PAD src0_sel:DWORD src1_sel:BYTE_0
	v_add_f32_e32 v19, v85, v19
	v_fmamk_f32 v82, v24, 0xbf5db3d7, v79
	v_mul_f32_e32 v85, 0xbf5db3d7, v84
	v_sub_f32_e32 v87, v26, v22
	v_add3_u32 v46, 0, v14, v46
	v_add_f32_e32 v14, v16, v25
	v_fmac_f32_e32 v67, 0xbf5db3d7, v78
	v_fmac_f32_e32 v85, 0.5, v82
	v_fmamk_f32 v16, v87, 0xbf5db3d7, v65
	s_waitcnt lgkmcnt(0)
	v_add_f32_e32 v78, v14, v19
	v_fmac_f32_e32 v79, 0x3f5db3d7, v24
	v_mul_f32_e32 v24, 0xbf5db3d7, v67
	v_add_f32_e32 v88, v16, v85
	s_barrier
	buffer_gl0_inv
	v_fmac_f32_e32 v65, 0x3f5db3d7, v87
	v_fmac_f32_e32 v24, -0.5, v79
	ds_write2_b32 v46, v78, v88 offset1:6
	v_add_f32_e32 v78, v100, v71
	v_sub_f32_e32 v16, v16, v85
	v_add_f32_e32 v85, v98, v81
	v_add_f32_e32 v87, v34, v100
	v_sub_f32_e32 v14, v14, v19
	v_fmac_f32_e32 v34, -0.5, v78
	v_sub_f32_e32 v78, v98, v81
	v_add_f32_e32 v19, v65, v24
	v_sub_f32_e32 v24, v65, v24
	v_add_f32_e32 v65, v36, v40
	v_add_f32_e32 v89, v30, v98
	v_fmac_f32_e32 v30, -0.5, v85
	v_sub_f32_e32 v85, v100, v71
	v_fmamk_f32 v90, v78, 0x3f5db3d7, v34
	v_add_f32_e32 v88, v9, v36
	v_fmac_f32_e32 v9, -0.5, v65
	v_sub_f32_e32 v92, v39, v41
	v_fmamk_f32 v91, v85, 0xbf5db3d7, v30
	v_mul_f32_e32 v65, 0xbf5db3d7, v90
	v_lshlrev_b32_sdwa v10, v15, v10 dst_sel:DWORD dst_unused:UNUSED_PAD src0_sel:DWORD src1_sel:WORD_0
	v_add_f32_e32 v81, v89, v81
	v_fmac_f32_e32 v34, 0xbf5db3d7, v78
	v_add_f32_e32 v78, v88, v40
	v_fmac_f32_e32 v65, 0.5, v91
	v_fmamk_f32 v88, v92, 0xbf5db3d7, v9
	v_add3_u32 v89, 0, v8, v10
	v_lshlrev_b32_sdwa v11, v15, v11 dst_sel:DWORD dst_unused:UNUSED_PAD src0_sel:DWORD src1_sel:WORD_0
	v_add_f32_e32 v8, v78, v81
	v_fmac_f32_e32 v30, 0x3f5db3d7, v85
	v_add_f32_e32 v10, v88, v65
	ds_write2_b32 v46, v19, v14 offset0:12 offset1:18
	ds_write2_b32 v46, v16, v24 offset0:24 offset1:30
	ds_write2_b32 v89, v8, v10 offset1:6
	v_add_f32_e32 v14, v32, v35
	v_add_f32_e32 v24, v76, v75
	v_sub_f32_e32 v8, v78, v81
	v_add_f32_e32 v19, v7, v32
	v_add_f32_e32 v78, v28, v76
	v_fmac_f32_e32 v7, -0.5, v14
	v_add_f32_e32 v14, v112, v72
	v_fmac_f32_e32 v28, -0.5, v24
	v_sub_f32_e32 v24, v112, v72
	v_sub_f32_e32 v16, v88, v65
	v_add_f32_e32 v65, v27, v112
	v_fmac_f32_e32 v27, -0.5, v14
	v_sub_f32_e32 v14, v76, v75
	v_fmamk_f32 v76, v24, 0x3f5db3d7, v28
	v_fmac_f32_e32 v28, 0xbf5db3d7, v24
	v_mul_f32_e32 v85, 0xbf5db3d7, v34
	v_add_f32_e32 v65, v65, v72
	v_add3_u32 v72, 0, v6, v11
	v_fmamk_f32 v24, v14, 0xbf5db3d7, v27
	v_mul_f32_e32 v6, 0xbf5db3d7, v76
	v_sub_f32_e32 v11, v33, v44
	v_fmac_f32_e32 v27, 0x3f5db3d7, v14
	v_mul_f32_e32 v14, 0xbf5db3d7, v28
	v_fmac_f32_e32 v9, 0x3f5db3d7, v92
	v_fmac_f32_e32 v85, -0.5, v30
	v_add_f32_e32 v19, v19, v35
	v_fmac_f32_e32 v6, 0.5, v24
	v_fmamk_f32 v81, v11, 0xbf5db3d7, v7
	v_fmac_f32_e32 v7, 0x3f5db3d7, v11
	v_fmac_f32_e32 v14, -0.5, v27
	v_add_f32_e32 v10, v9, v85
	v_sub_f32_e32 v9, v9, v85
	v_add_f32_e32 v11, v19, v65
	v_sub_f32_e32 v19, v19, v65
	;; [unrolled: 2-line block ×4, first 2 shown]
	ds_write2_b32 v89, v10, v8 offset0:12 offset1:18
	ds_write2_b32 v89, v16, v9 offset0:24 offset1:30
	ds_write2_b32 v72, v11, v65 offset1:6
	ds_write2_b32 v72, v81, v19 offset0:12 offset1:18
	ds_write2_b32 v72, v6, v7 offset0:24 offset1:30
	v_add_f32_e32 v7, v21, v66
	v_add_f32_e32 v6, v69, v83
	;; [unrolled: 1-line block ×5, first 2 shown]
	v_fmac_f32_e32 v68, -0.5, v7
	v_sub_f32_e32 v7, v80, v74
	v_add_f32_e32 v8, v5, v69
	v_fmac_f32_e32 v5, -0.5, v6
	v_fmac_f32_e32 v43, -0.5, v9
	v_add_f32_e32 v6, v10, v74
	v_sub_f32_e32 v9, v21, v66
	v_fmamk_f32 v74, v7, 0x3f5db3d7, v68
	v_mul_u32_u24_e32 v10, 0x90, v12
	v_fmac_f32_e32 v68, 0xbf5db3d7, v7
	v_sub_f32_e32 v12, v23, v70
	v_fmamk_f32 v80, v9, 0xbf5db3d7, v43
	v_mul_f32_e32 v7, 0xbf5db3d7, v74
	v_lshlrev_b32_sdwa v11, v15, v13 dst_sel:DWORD dst_unused:UNUSED_PAD src0_sel:DWORD src1_sel:WORD_0
	v_add_f32_e32 v8, v8, v83
	v_fmamk_f32 v13, v12, 0xbf5db3d7, v5
	v_fmac_f32_e32 v43, 0x3f5db3d7, v9
	v_fmac_f32_e32 v7, 0.5, v80
	v_mul_f32_e32 v9, 0xbf5db3d7, v68
	v_add3_u32 v85, 0, v10, v11
	v_add_f32_e32 v10, v8, v6
	v_fmac_f32_e32 v5, 0x3f5db3d7, v12
	v_add_f32_e32 v11, v13, v7
	v_fmac_f32_e32 v9, -0.5, v43
	v_sub_f32_e32 v6, v8, v6
	v_sub_f32_e32 v25, v101, v25
	v_add_f32_e32 v92, v39, v41
	ds_write2_b32 v85, v10, v11 offset1:6
	v_add_f32_e32 v10, v26, v22
	v_add_f32_e32 v8, v5, v9
	v_sub_f32_e32 v5, v5, v9
	v_add_f32_e32 v9, v73, v26
	v_mul_f32_e32 v26, 0.5, v84
	v_fmac_f32_e32 v73, -0.5, v10
	v_mul_f32_e32 v67, -0.5, v67
	v_sub_f32_e32 v36, v36, v40
	v_add_f32_e32 v84, v9, v22
	v_fmac_f32_e32 v26, 0x3f5db3d7, v82
	v_fmamk_f32 v82, v25, 0x3f5db3d7, v73
	v_fmac_f32_e32 v73, 0xbf5db3d7, v25
	v_add_f32_e32 v25, v38, v39
	v_fmac_f32_e32 v38, -0.5, v92
	v_mul_f32_e32 v39, 0.5, v90
	v_add_f32_e32 v86, v86, v20
	v_fmac_f32_e32 v67, 0x3f5db3d7, v79
	v_add_f32_e32 v25, v25, v41
	v_add_f32_e32 v41, v87, v71
	v_fmac_f32_e32 v39, 0x3f5db3d7, v91
	v_fmamk_f32 v71, v36, 0x3f5db3d7, v38
	v_add_f32_e32 v88, v84, v86
	v_add_f32_e32 v93, v82, v26
	;; [unrolled: 1-line block ×3, first 2 shown]
	v_sub_f32_e32 v26, v82, v26
	v_sub_f32_e32 v67, v73, v67
	;; [unrolled: 1-line block ×4, first 2 shown]
	v_add_f32_e32 v73, v25, v41
	v_add_f32_e32 v82, v71, v39
	ds_write2_b32 v85, v8, v6 offset0:12 offset1:18
	ds_write2_b32 v85, v7, v5 offset0:24 offset1:30
	s_waitcnt lgkmcnt(0)
	s_barrier
	buffer_gl0_inv
	ds_read_b32 v21, v31
	ds_read_b32 v19, v49
	ds_read_b32 v16, v48
	ds_read_b32 v20, v47
	ds_read_b32 v65, v37
	ds_read_b32 v22, v31 offset:13248
	ds_read2_b32 v[13:14], v60 offset0:48 offset1:192
	ds_read2_b32 v[11:12], v53 offset0:48 offset1:192
	;; [unrolled: 1-line block ×9, first 2 shown]
	s_waitcnt lgkmcnt(0)
	s_barrier
	buffer_gl0_inv
	ds_write2_b32 v46, v88, v93 offset1:6
	ds_write2_b32 v46, v79, v40 offset0:12 offset1:18
	v_mul_f32_e32 v34, -0.5, v34
	ds_write2_b32 v46, v26, v67 offset0:24 offset1:30
	ds_write2_b32 v89, v73, v82 offset1:6
	v_add_f32_e32 v26, v33, v44
	v_sub_f32_e32 v32, v32, v35
	v_fmac_f32_e32 v38, 0xbf5db3d7, v36
	v_fmac_f32_e32 v34, 0x3f5db3d7, v30
	v_add_f32_e32 v30, v77, v33
	v_fmac_f32_e32 v77, -0.5, v26
	v_mul_f32_e32 v26, 0.5, v76
	v_mul_f32_e32 v28, -0.5, v28
	v_add_f32_e32 v35, v78, v75
	v_add_f32_e32 v30, v30, v44
	v_sub_f32_e32 v25, v25, v41
	v_fmac_f32_e32 v26, 0x3f5db3d7, v24
	v_fmamk_f32 v24, v32, 0x3f5db3d7, v77
	v_add_f32_e32 v33, v38, v34
	v_fmac_f32_e32 v77, 0xbf5db3d7, v32
	v_fmac_f32_e32 v28, 0x3f5db3d7, v27
	v_sub_f32_e32 v36, v71, v39
	v_sub_f32_e32 v34, v38, v34
	v_add_f32_e32 v38, v30, v35
	v_add_f32_e32 v39, v24, v26
	ds_write2_b32 v89, v33, v25 offset0:12 offset1:18
	ds_write2_b32 v89, v36, v34 offset0:24 offset1:30
	ds_write2_b32 v72, v38, v39 offset1:6
	v_sub_f32_e32 v25, v30, v35
	v_add_f32_e32 v27, v77, v28
	v_mov_b32_e32 v32, 0xe38f
	v_sub_f32_e32 v24, v24, v26
	v_sub_f32_e32 v26, v77, v28
	v_add_f32_e32 v28, v42, v23
	v_add_f32_e32 v23, v23, v70
	ds_write2_b32 v72, v27, v25 offset0:12 offset1:18
	v_mul_u32_u24_sdwa v25, v56, v32 dst_sel:DWORD dst_unused:UNUSED_PAD src0_sel:WORD_0 src1_sel:DWORD
	ds_write2_b32 v72, v24, v26 offset0:24 offset1:30
	v_sub_f32_e32 v26, v69, v83
	v_fmac_f32_e32 v42, -0.5, v23
	v_mul_f32_e32 v27, 0.5, v74
	v_lshrrev_b32_e32 v23, 21, v25
	v_mul_u32_u24_sdwa v25, v57, v32 dst_sel:DWORD dst_unused:UNUSED_PAD src0_sel:WORD_0 src1_sel:DWORD
	v_mul_f32_e32 v33, -0.5, v68
	v_add_f32_e32 v24, v28, v70
	v_add_f32_e32 v28, v81, v66
	v_mul_lo_u16 v30, v23, 36
	v_lshrrev_b32_e32 v25, 21, v25
	v_fmamk_f32 v34, v26, 0x3f5db3d7, v42
	v_fmac_f32_e32 v27, 0x3f5db3d7, v80
	v_fmac_f32_e32 v42, 0xbf5db3d7, v26
	v_fmac_f32_e32 v33, 0x3f5db3d7, v43
	v_mul_lo_u16 v26, v25, 36
	v_sub_nc_u16 v30, v56, v30
	v_add_f32_e32 v35, v24, v28
	v_add_f32_e32 v36, v34, v27
	v_sub_f32_e32 v24, v24, v28
	v_sub_nc_u16 v26, v57, v26
	v_add_f32_e32 v28, v42, v33
	v_sub_f32_e32 v27, v34, v27
	v_mul_u32_u24_sdwa v34, v30, v17 dst_sel:DWORD dst_unused:UNUSED_PAD src0_sel:WORD_0 src1_sel:DWORD
	v_sub_f32_e32 v33, v42, v33
	ds_write2_b32 v85, v35, v36 offset1:6
	ds_write2_b32 v85, v28, v24 offset0:12 offset1:18
	v_mul_u32_u24_sdwa v28, v26, v17 dst_sel:DWORD dst_unused:UNUSED_PAD src0_sel:WORD_0 src1_sel:DWORD
	v_mul_u32_u24_e32 v23, 0x360, v23
	v_lshlrev_b32_e32 v24, 3, v34
	ds_write2_b32 v85, v27, v33 offset0:24 offset1:30
	v_lshrrev_b16 v33, 11, v18
	v_lshlrev_b32_e32 v38, 3, v28
	s_waitcnt lgkmcnt(0)
	s_barrier
	buffer_gl0_inv
	s_clause 0x1
	global_load_dwordx4 v[40:43], v24, s[12:13] offset:240
	global_load_dwordx4 v[66:69], v38, s[12:13] offset:240
	v_mul_u32_u24_sdwa v18, v58, v32 dst_sel:DWORD dst_unused:UNUSED_PAD src0_sel:WORD_0 src1_sel:DWORD
	v_mul_lo_u16 v28, v33, 36
	s_clause 0x1
	global_load_dwordx4 v[74:77], v38, s[12:13] offset:256
	global_load_dwordx4 v[70:73], v24, s[12:13] offset:256
	v_lshlrev_b32_sdwa v30, v15, v30 dst_sel:DWORD dst_unused:UNUSED_PAD src0_sel:DWORD src1_sel:WORD_0
	v_lshrrev_b32_e32 v27, 21, v18
	v_sub_nc_u16 v34, v54, v28
	v_mul_u32_u24_e32 v25, 0x360, v25
	v_lshlrev_b32_sdwa v26, v15, v26 dst_sel:DWORD dst_unused:UNUSED_PAD src0_sel:DWORD src1_sel:WORD_0
	v_mul_lo_u16 v18, v27, 36
	v_mul_u32_u24_sdwa v32, v34, v17 dst_sel:DWORD dst_unused:UNUSED_PAD src0_sel:BYTE_0 src1_sel:DWORD
	v_lshlrev_b32_sdwa v34, v15, v34 dst_sel:DWORD dst_unused:UNUSED_PAD src0_sel:DWORD src1_sel:BYTE_0
	v_sub_nc_u16 v28, v58, v18
	v_lshlrev_b32_e32 v18, 3, v32
	v_mul_u32_u24_sdwa v17, v28, v17 dst_sel:DWORD dst_unused:UNUSED_PAD src0_sel:WORD_0 src1_sel:DWORD
	global_load_dwordx4 v[78:81], v18, s[12:13] offset:240
	v_lshlrev_b32_e32 v17, 3, v17
	s_clause 0x6
	global_load_dwordx4 v[82:85], v17, s[12:13] offset:240
	global_load_dwordx4 v[86:89], v18, s[12:13] offset:256
	;; [unrolled: 1-line block ×3, first 2 shown]
	global_load_dwordx2 v[35:36], v18, s[12:13] offset:272
	global_load_dwordx2 v[102:103], v24, s[12:13] offset:272
	;; [unrolled: 1-line block ×4, first 2 shown]
	ds_read2_b32 v[108:109], v61 offset0:80 offset1:224
	ds_read2_b32 v[61:62], v62 offset0:16 offset1:160
	;; [unrolled: 1-line block ×6, first 2 shown]
	s_waitcnt vmcnt(11)
	v_mul_f32_e32 v17, v94, v41
	s_waitcnt vmcnt(10) lgkmcnt(5)
	v_mul_f32_e32 v18, v109, v67
	v_mul_f32_e32 v39, v108, v41
	s_waitcnt lgkmcnt(4)
	v_mul_f32_e32 v53, v61, v43
	v_mul_f32_e32 v24, v96, v43
	;; [unrolled: 1-line block ×3, first 2 shown]
	v_fma_f32 v44, v108, v40, -v17
	v_mul_f32_e32 v38, v62, v69
	v_mul_f32_e32 v17, v97, v69
	v_fmac_f32_e32 v18, v95, v66
	ds_read_b32 v67, v37
	s_waitcnt vmcnt(9) lgkmcnt(4)
	v_mul_f32_e32 v95, v111, v75
	v_mul_f32_e32 v43, v99, v75
	v_fmac_f32_e32 v39, v94, v40
	v_fmac_f32_e32 v53, v96, v42
	v_fma_f32 v60, v61, v42, -v24
	s_waitcnt vmcnt(8)
	v_mul_f32_e32 v94, v110, v71
	v_mul_f32_e32 v42, v98, v71
	v_fmac_f32_e32 v38, v97, v68
	s_waitcnt lgkmcnt(3)
	v_mul_f32_e32 v40, v64, v77
	v_fma_f32 v41, v62, v68, -v17
	v_mul_f32_e32 v62, v101, v77
	v_fmac_f32_e32 v95, v99, v74
	v_fma_f32 v74, v111, v74, -v43
	ds_read_b32 v46, v47
	ds_read_b32 v43, v49
	;; [unrolled: 1-line block ×3, first 2 shown]
	ds_read_b32 v77, v31 offset:13248
	ds_read2_b32 v[68:69], v51 offset0:48 offset1:192
	v_mul_f32_e32 v61, v63, v73
	v_fma_f32 v24, v109, v66, -v32
	v_mul_f32_e32 v32, v100, v73
	v_fmac_f32_e32 v94, v98, v70
	v_fma_f32 v75, v110, v70, -v42
	ds_read2_b32 v[70:71], v50 offset0:48 offset1:192
	v_fmac_f32_e32 v61, v100, v72
	v_fma_f32 v63, v63, v72, -v32
	s_waitcnt vmcnt(7)
	v_mul_f32_e32 v42, v65, v79
	ds_read2_b32 v[72:73], v52 offset0:80 offset1:224
	s_waitcnt lgkmcnt(7)
	v_mul_f32_e32 v66, v67, v79
	v_fma_f32 v62, v64, v76, -v62
	v_mul_f32_e32 v32, v113, v81
	v_mul_f32_e32 v51, v14, v81
	v_fma_f32 v67, v67, v78, -v42
	s_waitcnt vmcnt(6)
	v_mul_f32_e32 v42, v112, v83
	v_mul_f32_e32 v64, v13, v83
	v_fmac_f32_e32 v40, v101, v76
	v_fmac_f32_e32 v66, v65, v78
	;; [unrolled: 1-line block ×3, first 2 shown]
	v_fma_f32 v14, v113, v80, -v51
	v_fmac_f32_e32 v42, v13, v82
	v_mul_f32_e32 v51, v114, v85
	v_fma_f32 v50, v112, v82, -v64
	v_mul_f32_e32 v13, v11, v85
	s_waitcnt vmcnt(5)
	v_mul_f32_e32 v76, v115, v87
	v_mul_f32_e32 v64, v12, v87
	s_waitcnt vmcnt(4) lgkmcnt(2)
	v_mul_f32_e32 v78, v68, v91
	v_mul_f32_e32 v65, v9, v91
	v_fmac_f32_e32 v51, v11, v84
	v_mul_f32_e32 v11, v69, v89
	v_fma_f32 v52, v114, v84, -v13
	v_fmac_f32_e32 v76, v12, v86
	v_mul_f32_e32 v12, v10, v89
	v_fma_f32 v13, v115, v86, -v64
	s_waitcnt lgkmcnt(1)
	v_mul_f32_e32 v64, v70, v93
	v_fmac_f32_e32 v78, v9, v90
	v_fma_f32 v9, v68, v90, -v65
	s_waitcnt vmcnt(3)
	v_mul_f32_e32 v68, v71, v36
	v_mul_f32_e32 v36, v8, v36
	v_fmac_f32_e32 v11, v10, v88
	v_fma_f32 v10, v69, v88, -v12
	v_mul_f32_e32 v12, v7, v93
	s_waitcnt vmcnt(2) lgkmcnt(0)
	v_mul_f32_e32 v69, v72, v103
	v_fmac_f32_e32 v64, v7, v92
	v_fmac_f32_e32 v68, v8, v35
	v_fma_f32 v7, v71, v35, -v36
	s_waitcnt vmcnt(0)
	v_mul_f32_e32 v35, v77, v107
	v_fma_f32 v65, v70, v92, -v12
	v_fmac_f32_e32 v69, v5, v102
	v_mul_f32_e32 v5, v5, v103
	v_mul_f32_e32 v8, v73, v105
	v_mul_f32_e32 v12, v6, v105
	v_mul_f32_e32 v36, v22, v107
	v_fmac_f32_e32 v35, v22, v106
	v_add_f32_e32 v22, v13, v7
	v_fma_f32 v5, v72, v102, -v5
	v_fmac_f32_e32 v8, v6, v104
	v_fma_f32 v6, v73, v104, -v12
	v_add_f32_e32 v72, v76, v68
	v_add_f32_e32 v73, v67, v13
	v_fmac_f32_e32 v67, -0.5, v22
	v_sub_f32_e32 v22, v76, v68
	v_fma_f32 v71, v77, v106, -v36
	v_add_f32_e32 v12, v32, v11
	v_mov_b32_e32 v77, 0x360
	v_add_f32_e32 v76, v66, v76
	v_fmac_f32_e32 v66, -0.5, v72
	v_sub_f32_e32 v13, v13, v7
	v_fmamk_f32 v72, v22, 0x3f5db3d7, v67
	v_add_f32_e32 v36, v21, v32
	v_mul_u32_u24_sdwa v33, v33, v77 dst_sel:DWORD dst_unused:UNUSED_PAD src0_sel:WORD_0 src1_sel:DWORD
	v_fmac_f32_e32 v21, -0.5, v12
	v_add_f32_e32 v12, v76, v68
	v_fmamk_f32 v68, v13, 0xbf5db3d7, v66
	v_mul_f32_e32 v76, 0xbf5db3d7, v72
	v_sub_f32_e32 v77, v14, v10
	v_add3_u32 v79, 0, v33, v34
	v_fmac_f32_e32 v67, 0xbf5db3d7, v22
	v_add_f32_e32 v22, v36, v11
	v_fmac_f32_e32 v76, 0.5, v68
	v_fmamk_f32 v33, v77, 0xbf5db3d7, v21
	ds_read_b32 v70, v31
	v_fmac_f32_e32 v66, 0x3f5db3d7, v13
	v_add_f32_e32 v34, v22, v12
	v_mul_f32_e32 v13, 0xbf5db3d7, v67
	v_add_f32_e32 v36, v33, v76
	s_waitcnt lgkmcnt(0)
	s_barrier
	buffer_gl0_inv
	v_fmac_f32_e32 v21, 0x3f5db3d7, v77
	ds_write2_b32 v79, v34, v36 offset1:36
	v_add_f32_e32 v34, v75, v5
	v_fmac_f32_e32 v13, -0.5, v66
	v_sub_f32_e32 v33, v33, v76
	v_add_f32_e32 v36, v94, v69
	v_add_f32_e32 v76, v44, v75
	v_fmac_f32_e32 v44, -0.5, v34
	v_sub_f32_e32 v34, v94, v69
	v_sub_f32_e32 v12, v22, v12
	v_add_f32_e32 v22, v21, v13
	v_sub_f32_e32 v13, v21, v13
	v_add_f32_e32 v21, v53, v61
	v_add_f32_e32 v80, v39, v94
	v_fmac_f32_e32 v39, -0.5, v36
	v_sub_f32_e32 v36, v75, v5
	v_fmamk_f32 v75, v34, 0x3f5db3d7, v44
	v_add_f32_e32 v77, v20, v53
	v_fmac_f32_e32 v20, -0.5, v21
	v_add_f32_e32 v21, v80, v69
	v_fmamk_f32 v69, v36, 0xbf5db3d7, v39
	v_mul_f32_e32 v80, 0xbf5db3d7, v75
	v_sub_f32_e32 v81, v60, v63
	v_fmac_f32_e32 v44, 0xbf5db3d7, v34
	v_add_f32_e32 v34, v77, v61
	v_add3_u32 v90, 0, v23, v30
	v_fmac_f32_e32 v80, 0.5, v69
	v_fmamk_f32 v77, v81, 0xbf5db3d7, v20
	v_fmac_f32_e32 v39, 0x3f5db3d7, v36
	v_add_f32_e32 v23, v34, v21
	v_mul_f32_e32 v36, 0xbf5db3d7, v44
	v_fmac_f32_e32 v20, 0x3f5db3d7, v81
	v_add_f32_e32 v30, v77, v80
	ds_write2_b32 v79, v22, v12 offset0:72 offset1:108
	ds_write2_b32 v79, v33, v13 offset0:144 offset1:180
	ds_write2_b32 v90, v23, v30 offset1:36
	v_add_f32_e32 v23, v74, v6
	v_sub_f32_e32 v12, v34, v21
	v_sub_f32_e32 v21, v77, v80
	v_add_f32_e32 v22, v38, v40
	v_add_f32_e32 v33, v95, v8
	;; [unrolled: 1-line block ×3, first 2 shown]
	v_fmac_f32_e32 v24, -0.5, v23
	v_sub_f32_e32 v23, v95, v8
	v_add_f32_e32 v30, v19, v38
	v_add_f32_e32 v34, v18, v95
	v_fmac_f32_e32 v19, -0.5, v22
	v_fmac_f32_e32 v18, -0.5, v33
	v_sub_f32_e32 v22, v74, v6
	v_fmamk_f32 v74, v23, 0x3f5db3d7, v24
	v_fmac_f32_e32 v24, 0xbf5db3d7, v23
	v_sub_f32_e32 v33, v41, v62
	v_fmac_f32_e32 v36, -0.5, v39
	v_fmamk_f32 v91, v22, 0xbf5db3d7, v18
	v_mul_f32_e32 v23, 0xbf5db3d7, v74
	v_fmac_f32_e32 v18, 0x3f5db3d7, v22
	v_mul_f32_e32 v22, 0xbf5db3d7, v24
	v_add_f32_e32 v8, v34, v8
	v_add_f32_e32 v30, v30, v40
	v_fmac_f32_e32 v23, 0.5, v91
	v_fmamk_f32 v34, v33, 0xbf5db3d7, v19
	v_fmac_f32_e32 v19, 0x3f5db3d7, v33
	v_fmac_f32_e32 v22, -0.5, v18
	v_add_f32_e32 v13, v20, v36
	v_sub_f32_e32 v20, v20, v36
	v_add3_u32 v92, 0, v25, v26
	v_add_f32_e32 v25, v30, v8
	v_add_f32_e32 v26, v34, v23
	v_sub_f32_e32 v8, v30, v8
	v_add_f32_e32 v30, v19, v22
	v_sub_f32_e32 v23, v34, v23
	v_sub_f32_e32 v19, v19, v22
	ds_write2_b32 v90, v13, v12 offset0:72 offset1:108
	ds_write2_b32 v90, v21, v20 offset0:144 offset1:180
	ds_write2_b32 v92, v25, v26 offset1:36
	ds_write2_b32 v92, v30, v8 offset0:72 offset1:108
	ds_write2_b32 v92, v23, v19 offset0:144 offset1:180
	v_add_f32_e32 v12, v9, v71
	v_add_f32_e32 v19, v78, v35
	;; [unrolled: 1-line block ×5, first 2 shown]
	v_fmac_f32_e32 v50, -0.5, v12
	v_sub_f32_e32 v12, v78, v35
	v_fmac_f32_e32 v42, -0.5, v19
	v_sub_f32_e32 v9, v9, v71
	v_add_f32_e32 v13, v16, v51
	v_fmac_f32_e32 v16, -0.5, v8
	v_fmamk_f32 v78, v12, 0x3f5db3d7, v50
	v_fmac_f32_e32 v50, 0xbf5db3d7, v12
	v_fmamk_f32 v94, v9, 0xbf5db3d7, v42
	v_sub_f32_e32 v21, v52, v65
	v_fmac_f32_e32 v42, 0x3f5db3d7, v9
	v_add_f32_e32 v8, v20, v35
	v_mul_f32_e32 v9, 0xbf5db3d7, v50
	v_mul_u32_u24_e32 v19, 0x360, v27
	v_lshlrev_b32_sdwa v20, v15, v28 dst_sel:DWORD dst_unused:UNUSED_PAD src0_sel:DWORD src1_sel:WORD_0
	v_add_f32_e32 v13, v13, v64
	v_fmamk_f32 v22, v21, 0xbf5db3d7, v16
	v_fmac_f32_e32 v16, 0x3f5db3d7, v21
	v_fmac_f32_e32 v9, -0.5, v42
	v_add3_u32 v95, 0, v19, v20
	v_add_f32_e32 v19, v13, v8
	v_sub_f32_e32 v8, v13, v8
	v_mul_f32_e32 v12, 0xbf5db3d7, v78
	v_add_f32_e32 v13, v16, v9
	v_sub_f32_e32 v9, v16, v9
	v_add_f32_e32 v16, v70, v14
	v_add_f32_e32 v14, v14, v10
	v_mul_f32_e32 v72, 0.5, v72
	v_sub_f32_e32 v97, v32, v11
	v_fmac_f32_e32 v12, 0.5, v94
	v_add_f32_e32 v96, v16, v10
	v_fmac_f32_e32 v70, -0.5, v14
	v_add_f32_e32 v73, v73, v7
	v_fmac_f32_e32 v72, 0x3f5db3d7, v68
	v_add_f32_e32 v20, v22, v12
	v_add_nc_u32_e32 v34, 0x1600, v31
	v_fmamk_f32 v68, v97, 0x3f5db3d7, v70
	v_add_f32_e32 v98, v96, v73
	v_sub_f32_e32 v12, v22, v12
	v_add_nc_u32_e32 v36, 0x2400, v31
	v_lshl_add_u32 v28, v59, 2, 0
	v_add_f32_e32 v99, v68, v72
	v_add_nc_u32_e32 v35, 0x3000, v31
	v_add_nc_u32_e32 v25, 0xc00, v31
	;; [unrolled: 1-line block ×3, first 2 shown]
	ds_write2_b32 v95, v19, v20 offset1:36
	ds_write2_b32 v95, v13, v8 offset0:72 offset1:108
	ds_write2_b32 v95, v12, v9 offset0:144 offset1:180
	s_waitcnt lgkmcnt(0)
	s_barrier
	buffer_gl0_inv
	v_add_nc_u32_e32 v26, 0x2800, v31
	v_add_nc_u32_e32 v30, 0x1200, v31
	;; [unrolled: 1-line block ×4, first 2 shown]
	ds_read_b32 v16, v48
	ds_read_b32 v21, v31
	ds_read_b32 v14, v37
	ds_read_b32 v19, v49
	ds_read_b32 v20, v47
	ds_read_b32 v13, v28
	ds_read2_b32 v[22:23], v25 offset0:96 offset1:240
	ds_read2_b32 v[80:81], v27 offset0:64 offset1:208
	;; [unrolled: 1-line block ×3, first 2 shown]
	ds_read2_b32 v[82:83], v30 offset1:144
	ds_read2_b32 v[84:85], v33 offset0:96 offset1:240
	ds_read2_b32 v[9:10], v32 offset0:64 offset1:208
	;; [unrolled: 1-line block ×3, first 2 shown]
	ds_read2_b32 v[88:89], v36 offset1:144
	ds_read2_b32 v[7:8], v35 offset0:96 offset1:240
	s_waitcnt lgkmcnt(0)
	s_barrier
	buffer_gl0_inv
	ds_write2_b32 v79, v98, v99 offset1:36
	v_add_f32_e32 v98, v60, v63
	v_mul_f32_e32 v67, -0.5, v67
	v_mul_f32_e32 v44, -0.5, v44
	v_add_f32_e32 v60, v46, v60
	v_sub_f32_e32 v53, v53, v61
	v_fmac_f32_e32 v46, -0.5, v98
	v_fmac_f32_e32 v67, 0x3f5db3d7, v66
	v_sub_f32_e32 v66, v96, v73
	v_mul_f32_e32 v73, 0.5, v75
	v_fmac_f32_e32 v44, 0x3f5db3d7, v39
	v_add_f32_e32 v39, v41, v62
	v_fmac_f32_e32 v70, 0xbf5db3d7, v97
	v_add_f32_e32 v60, v60, v63
	v_add_f32_e32 v5, v76, v5
	v_fmamk_f32 v63, v53, 0x3f5db3d7, v46
	v_fmac_f32_e32 v46, 0xbf5db3d7, v53
	v_fmac_f32_e32 v73, 0x3f5db3d7, v69
	v_add_f32_e32 v41, v43, v41
	v_fmac_f32_e32 v43, -0.5, v39
	v_mul_f32_e32 v39, 0.5, v74
	v_sub_f32_e32 v38, v38, v40
	v_mul_f32_e32 v24, -0.5, v24
	v_add_f32_e32 v61, v70, v67
	v_sub_f32_e32 v68, v68, v72
	v_sub_f32_e32 v67, v70, v67
	v_add_f32_e32 v69, v60, v5
	v_sub_f32_e32 v5, v60, v5
	v_add_f32_e32 v53, v46, v44
	v_add_f32_e32 v70, v63, v73
	;; [unrolled: 1-line block ×4, first 2 shown]
	v_fmac_f32_e32 v39, 0x3f5db3d7, v91
	v_fmamk_f32 v41, v38, 0x3f5db3d7, v43
	v_fmac_f32_e32 v43, 0xbf5db3d7, v38
	v_fmac_f32_e32 v24, 0x3f5db3d7, v18
	ds_write2_b32 v79, v61, v66 offset0:72 offset1:108
	ds_write2_b32 v79, v68, v67 offset0:144 offset1:180
	ds_write2_b32 v90, v69, v70 offset1:36
	v_sub_f32_e32 v60, v63, v73
	v_sub_f32_e32 v18, v46, v44
	ds_write2_b32 v90, v53, v5 offset0:72 offset1:108
	v_add_f32_e32 v5, v52, v65
	v_add_f32_e32 v38, v40, v6
	;; [unrolled: 1-line block ×3, first 2 shown]
	v_sub_f32_e32 v6, v40, v6
	v_add_f32_e32 v40, v43, v24
	ds_write2_b32 v90, v60, v18 offset0:144 offset1:180
	ds_write2_b32 v92, v38, v44 offset1:36
	ds_write2_b32 v92, v40, v6 offset0:72 offset1:108
	v_add_f32_e32 v6, v17, v52
	v_fmac_f32_e32 v17, -0.5, v5
	v_sub_f32_e32 v5, v51, v64
	v_sub_f32_e32 v18, v41, v39
	v_mul_f32_e32 v38, 0.5, v78
	v_mul_f32_e32 v39, -0.5, v50
	v_sub_f32_e32 v24, v43, v24
	v_fmamk_f32 v41, v5, 0x3f5db3d7, v17
	v_fmac_f32_e32 v17, 0xbf5db3d7, v5
	v_add_nc_u32_e32 v5, 0xffffffb8, v54
	v_add_f32_e32 v6, v6, v65
	v_add_f32_e32 v40, v93, v71
	v_fmac_f32_e32 v38, 0x3f5db3d7, v94
	v_fmac_f32_e32 v39, 0x3f5db3d7, v42
	v_cndmask_b32_e64 v44, v5, v56, s0
	ds_write2_b32 v92, v18, v24 offset0:144 offset1:180
	v_add_f32_e32 v42, v6, v40
	v_sub_f32_e32 v40, v6, v40
	v_add_f32_e32 v43, v41, v38
	v_sub_f32_e32 v38, v41, v38
	v_add_f32_e32 v41, v17, v39
	v_sub_f32_e32 v39, v17, v39
	v_mul_u32_u24_e32 v17, 3, v54
	v_mov_b32_e32 v6, 0
	v_lshrrev_b16 v18, 3, v58
	v_mov_b32_e32 v24, 0x12f7
	v_mul_i32_i24_e32 v5, 3, v44
	ds_write2_b32 v95, v42, v43 offset1:36
	ds_write2_b32 v95, v41, v40 offset0:72 offset1:108
	v_lshlrev_b32_e32 v42, 3, v17
	ds_write2_b32 v95, v38, v39 offset0:144 offset1:180
	v_mul_u32_u24_sdwa v40, v18, v24 dst_sel:DWORD dst_unused:UNUSED_PAD src0_sel:WORD_0 src1_sel:DWORD
	v_lshlrev_b64 v[17:18], 3, v[5:6]
	v_lshrrev_b16 v38, 3, v55
	s_waitcnt lgkmcnt(0)
	s_barrier
	v_lshrrev_b32_e32 v5, 17, v40
	buffer_gl0_inv
	v_add_co_u32 v17, s0, s12, v17
	v_add_co_ci_u32_e64 v18, s0, s13, v18, s0
	v_mul_u32_u24_sdwa v38, v38, v24 dst_sel:DWORD dst_unused:UNUSED_PAD src0_sel:WORD_0 src1_sel:DWORD
	s_clause 0x1
	global_load_dwordx4 v[50:53], v42, s[12:13] offset:1680
	global_load_dwordx4 v[60:63], v[17:18], off offset:1680
	v_add_co_u32 v40, s0, s12, v42
	v_mul_lo_u16 v5, 0xd8, v5
	v_lshrrev_b16 v39, 3, v59
	v_add_co_ci_u32_e64 v41, null, s13, 0, s0
	v_lshrrev_b32_e32 v46, 17, v38
	v_add_co_u32 v38, s0, 0x800, v40
	v_sub_nc_u16 v5, v58, v5
	v_mul_u32_u24_sdwa v24, v39, v24 dst_sel:DWORD dst_unused:UNUSED_PAD src0_sel:WORD_0 src1_sel:DWORD
	v_add_co_ci_u32_e64 v39, s0, 0, v41, s0
	v_mul_lo_u16 v68, 0xd8, v46
	v_and_b32_e32 v5, 0xffff, v5
	v_lshrrev_b32_e32 v24, 17, v24
	global_load_dwordx4 v[64:67], v[38:39], off offset:1360
	v_mov_b32_e32 v38, 3
	v_sub_nc_u16 v104, v55, v68
	v_mul_u32_u24_e32 v43, 3, v5
	v_mul_lo_u16 v24, 0xd8, v24
	v_lshl_add_u32 v5, v5, 2, 0
	v_mul_u32_u24_sdwa v38, v104, v38 dst_sel:DWORD dst_unused:UNUSED_PAD src0_sel:WORD_0 src1_sel:DWORD
	v_lshlrev_b32_e32 v90, 3, v43
	v_sub_nc_u16 v24, v59, v24
	v_lshlrev_b32_e32 v92, 3, v38
	global_load_dwordx4 v[68:71], v90, s[12:13] offset:1680
	v_and_b32_e32 v24, 0xffff, v24
	global_load_dwordx4 v[72:75], v92, s[12:13] offset:1680
	v_mul_u32_u24_e32 v38, 3, v24
	v_lshlrev_b32_e32 v94, 3, v38
	s_clause 0x1
	global_load_dwordx4 v[76:79], v94, s[12:13] offset:1680
	global_load_dwordx2 v[38:39], v42, s[12:13] offset:1696
	v_add_co_u32 v42, s0, 0xd50, v40
	v_add_co_ci_u32_e64 v43, s0, 0, v41, s0
	s_clause 0x4
	global_load_dwordx2 v[17:18], v[17:18], off offset:1696
	global_load_dwordx2 v[42:43], v[42:43], off offset:16
	global_load_dwordx2 v[90:91], v90, s[12:13] offset:1696
	global_load_dwordx2 v[92:93], v92, s[12:13] offset:1696
	;; [unrolled: 1-line block ×3, first 2 shown]
	ds_read2_b32 v[96:97], v25 offset0:96 offset1:240
	ds_read2_b32 v[98:99], v27 offset0:64 offset1:208
	ds_read2_b32 v[100:101], v30 offset1:144
	ds_read2_b32 v[102:103], v33 offset0:96 offset1:240
	v_cmp_lt_u32_e64 s0, 0x47, v54
	s_waitcnt vmcnt(11) lgkmcnt(3)
	v_mul_f32_e32 v105, v96, v51
	v_mul_f32_e32 v51, v22, v51
	s_waitcnt lgkmcnt(2)
	v_mul_f32_e32 v106, v98, v53
	s_waitcnt vmcnt(10)
	v_mul_f32_e32 v107, v97, v61
	v_fmac_f32_e32 v105, v22, v50
	v_mul_f32_e32 v22, v80, v53
	v_fma_f32 v96, v96, v50, -v51
	v_mul_f32_e32 v50, v23, v61
	v_fmac_f32_e32 v106, v80, v52
	v_fmac_f32_e32 v107, v23, v60
	v_fma_f32 v80, v98, v52, -v22
	ds_read2_b32 v[22:23], v34 offset0:32 offset1:176
	v_mul_f32_e32 v98, v99, v63
	v_mul_f32_e32 v52, v81, v63
	v_fma_f32 v97, v97, v60, -v50
	ds_read2_b32 v[50:51], v36 offset1:144
	v_fmac_f32_e32 v98, v81, v62
	s_waitcnt vmcnt(9) lgkmcnt(3)
	v_mul_f32_e32 v81, v100, v65
	v_mul_f32_e32 v53, v82, v65
	v_fma_f32 v65, v99, v62, -v52
	s_waitcnt lgkmcnt(2)
	v_mul_f32_e32 v99, v102, v67
	v_mul_f32_e32 v52, v84, v67
	v_fmac_f32_e32 v81, v82, v64
	v_fma_f32 v64, v100, v64, -v53
	v_fmac_f32_e32 v99, v84, v66
	v_fma_f32 v66, v102, v66, -v52
	ds_read2_b32 v[52:53], v26 offset0:32 offset1:176
	s_waitcnt vmcnt(8)
	v_mul_f32_e32 v67, v101, v69
	v_mul_f32_e32 v60, v83, v69
	;; [unrolled: 1-line block ×4, first 2 shown]
	s_waitcnt vmcnt(7) lgkmcnt(2)
	v_mul_f32_e32 v71, v22, v73
	v_mul_f32_e32 v63, v86, v73
	v_fmac_f32_e32 v67, v83, v68
	v_fma_f32 v68, v101, v68, -v60
	v_fmac_f32_e32 v69, v85, v70
	ds_read2_b32 v[60:61], v32 offset0:64 offset1:208
	v_fma_f32 v70, v103, v70, -v62
	v_fmac_f32_e32 v71, v86, v72
	v_fma_f32 v72, v22, v72, -v63
	ds_read2_b32 v[62:63], v35 offset0:96 offset1:240
	s_waitcnt lgkmcnt(3)
	v_mul_f32_e32 v73, v50, v75
	v_mul_f32_e32 v75, v88, v75
	s_waitcnt vmcnt(6)
	v_mul_f32_e32 v22, v23, v77
	v_add_nc_u32_e32 v85, 0x680, v31
	v_fmac_f32_e32 v73, v88, v74
	v_fma_f32 v50, v50, v74, -v75
	v_mul_f32_e32 v74, v87, v77
	v_mul_f32_e32 v75, v51, v79
	;; [unrolled: 1-line block ×3, first 2 shown]
	s_waitcnt vmcnt(5) lgkmcnt(2)
	v_mul_f32_e32 v79, v52, v39
	v_fmac_f32_e32 v22, v87, v76
	v_fma_f32 v74, v23, v76, -v74
	v_mul_f32_e32 v23, v11, v39
	v_fmac_f32_e32 v75, v89, v78
	v_fmac_f32_e32 v79, v11, v38
	s_waitcnt vmcnt(4)
	v_mul_f32_e32 v11, v53, v18
	v_mul_f32_e32 v18, v12, v18
	s_waitcnt vmcnt(3) lgkmcnt(1)
	v_mul_f32_e32 v39, v60, v43
	v_mul_f32_e32 v43, v9, v43
	v_fma_f32 v23, v52, v38, -v23
	v_fmac_f32_e32 v11, v12, v17
	v_fma_f32 v12, v53, v17, -v18
	s_waitcnt vmcnt(0) lgkmcnt(0)
	v_mul_f32_e32 v52, v63, v95
	v_mul_f32_e32 v53, v8, v95
	v_fmac_f32_e32 v39, v9, v42
	v_fma_f32 v9, v60, v42, -v43
	v_mul_f32_e32 v17, v61, v91
	v_mul_f32_e32 v18, v10, v91
	v_sub_f32_e32 v42, v21, v106
	v_sub_f32_e32 v43, v105, v79
	v_fmac_f32_e32 v52, v8, v94
	v_fma_f32 v8, v63, v94, -v53
	v_sub_f32_e32 v63, v20, v98
	v_sub_f32_e32 v76, v107, v11
	v_fmac_f32_e32 v17, v10, v90
	v_fma_f32 v10, v61, v90, -v18
	v_fma_f32 v18, v21, 2.0, -v42
	v_fma_f32 v21, v105, 2.0, -v43
	v_sub_f32_e32 v23, v96, v23
	v_lshlrev_b32_e32 v11, 2, v44
	v_cndmask_b32_e64 v44, 0, 0xd80, s0
	v_fma_f32 v20, v20, 2.0, -v63
	v_fma_f32 v82, v107, 2.0, -v76
	v_sub_f32_e32 v83, v97, v12
	v_mul_f32_e32 v38, v62, v93
	v_sub_f32_e32 v21, v18, v21
	v_add_f32_e32 v60, v42, v23
	v_add3_u32 v84, 0, v44, v11
	v_sub_f32_e32 v11, v20, v82
	v_add_f32_e32 v12, v63, v83
	v_sub_f32_e32 v44, v19, v99
	v_sub_f32_e32 v82, v81, v39
	v_fmac_f32_e32 v38, v7, v92
	v_mul_f32_e32 v7, v7, v93
	v_fma_f32 v18, v18, 2.0, -v21
	v_fma_f32 v42, v42, 2.0, -v60
	;; [unrolled: 1-line block ×6, first 2 shown]
	v_fma_f32 v51, v51, v78, -v77
	v_fma_f32 v7, v62, v92, -v7
	ds_read_b32 v53, v48
	ds_read_b32 v61, v31
	;; [unrolled: 1-line block ×6, first 2 shown]
	s_waitcnt lgkmcnt(0)
	s_barrier
	buffer_gl0_inv
	ds_write2_b32 v31, v18, v42 offset1:216
	ds_write2_b32 v85, v21, v60 offset0:16 offset1:232
	ds_write2_b32 v84, v20, v39 offset1:216
	v_sub_f32_e32 v18, v19, v63
	v_sub_f32_e32 v60, v64, v9
	;; [unrolled: 1-line block ×4, first 2 shown]
	v_add_nc_u32_e32 v63, 0x680, v84
	v_fma_f32 v17, v19, 2.0, -v18
	v_add_f32_e32 v19, v44, v60
	v_lshl_add_u32 v20, v54, 2, 0
	v_fma_f32 v16, v16, 2.0, -v9
	v_fma_f32 v21, v67, 2.0, -v69
	v_sub_f32_e32 v67, v68, v10
	v_fma_f32 v10, v44, 2.0, -v19
	v_add_nc_u32_e32 v81, 0xe80, v20
	ds_write2_b32 v63, v11, v12 offset0:16 offset1:232
	v_sub_f32_e32 v11, v16, v21
	v_add_f32_e32 v12, v9, v67
	v_add_nc_u32_e32 v86, 0x1500, v20
	ds_write2_b32 v81, v17, v10 offset0:8 offset1:224
	v_add_nc_u32_e32 v87, 0x1b00, v5
	v_fma_f32 v10, v16, 2.0, -v11
	v_fma_f32 v9, v9, 2.0, -v12
	v_add_nc_u32_e32 v5, 0x2180, v5
	v_sub_f32_e32 v16, v14, v73
	v_sub_f32_e32 v73, v71, v38
	ds_write2_b32 v86, v18, v19 offset0:24 offset1:240
	ds_write2_b32 v87, v10, v9 offset1:216
	ds_write2_b32 v5, v11, v12 offset0:16 offset1:232
	v_sub_f32_e32 v12, v13, v75
	v_sub_f32_e32 v52, v22, v52
	v_fma_f32 v10, v14, 2.0, -v16
	v_fma_f32 v11, v71, 2.0, -v73
	v_sub_f32_e32 v71, v72, v7
	v_fma_f32 v13, v13, 2.0, -v12
	v_fma_f32 v14, v22, 2.0, -v52
	v_lshlrev_b32_sdwa v9, v15, v104 dst_sel:DWORD dst_unused:UNUSED_PAD src0_sel:DWORD src1_sel:WORD_0
	v_mul_u32_u24_e32 v7, 0xd80, v46
	v_sub_f32_e32 v11, v10, v11
	v_sub_f32_e32 v75, v74, v8
	v_add_f32_e32 v15, v16, v71
	v_sub_f32_e32 v8, v13, v14
	v_lshl_add_u32 v14, v24, 2, 0
	v_sub_f32_e32 v80, v61, v80
	v_add3_u32 v88, 0, v7, v9
	v_fma_f32 v7, v10, 2.0, -v11
	v_add_f32_e32 v10, v12, v75
	v_fma_f32 v9, v16, 2.0, -v15
	v_add_nc_u32_e32 v90, 0x2800, v14
	v_add_nc_u32_e32 v91, 0x2f00, v14
	v_fma_f32 v14, v96, 2.0, -v23
	v_fma_f32 v61, v61, 2.0, -v80
	v_add_nc_u32_e32 v89, 0x680, v88
	v_fma_f32 v13, v13, 2.0, -v8
	v_fma_f32 v12, v12, 2.0, -v10
	ds_write2_b32 v88, v7, v9 offset1:216
	ds_write2_b32 v89, v11, v15 offset0:16 offset1:232
	ds_write2_b32 v90, v13, v12 offset0:32 offset1:248
	;; [unrolled: 1-line block ×3, first 2 shown]
	v_sub_f32_e32 v92, v61, v14
	v_sub_f32_e32 v93, v80, v43
	s_waitcnt lgkmcnt(0)
	s_barrier
	buffer_gl0_inv
	ds_read_b32 v39, v49
	ds_read_b32 v42, v48
	;; [unrolled: 1-line block ×6, first 2 shown]
	ds_read2_b32 v[9:10], v25 offset0:96 offset1:240
	ds_read2_b32 v[7:8], v27 offset0:64 offset1:208
	ds_read2_b32 v[11:12], v26 offset0:32 offset1:176
	ds_read2_b32 v[15:16], v30 offset1:144
	ds_read2_b32 v[13:14], v33 offset0:96 offset1:240
	ds_read2_b32 v[17:18], v32 offset0:64 offset1:208
	;; [unrolled: 1-line block ×3, first 2 shown]
	ds_read2_b32 v[19:20], v36 offset1:144
	ds_read2_b32 v[21:22], v35 offset0:96 offset1:240
	v_sub_f32_e32 v47, v78, v65
	v_sub_f32_e32 v49, v77, v66
	v_fma_f32 v48, v97, 2.0, -v83
	v_fma_f32 v60, v64, 2.0, -v60
	;; [unrolled: 1-line block ×5, first 2 shown]
	v_sub_f32_e32 v66, v47, v76
	v_fma_f32 v76, v80, 2.0, -v93
	v_sub_f32_e32 v77, v49, v82
	v_sub_f32_e32 v48, v65, v48
	;; [unrolled: 1-line block ×3, first 2 shown]
	s_waitcnt lgkmcnt(0)
	s_barrier
	buffer_gl0_inv
	v_fma_f32 v65, v65, 2.0, -v48
	v_fma_f32 v47, v47, 2.0, -v66
	ds_write2_b32 v31, v61, v76 offset1:216
	v_fma_f32 v61, v64, 2.0, -v60
	v_fma_f32 v49, v49, 2.0, -v77
	v_sub_f32_e32 v64, v53, v70
	ds_write2_b32 v85, v92, v93 offset0:16 offset1:232
	ds_write2_b32 v84, v65, v47 offset1:216
	ds_write2_b32 v63, v48, v66 offset0:16 offset1:232
	v_fma_f32 v47, v68, 2.0, -v67
	ds_write2_b32 v81, v61, v49 offset0:8 offset1:224
	v_sub_f32_e32 v49, v62, v50
	v_sub_f32_e32 v50, v79, v51
	v_fma_f32 v48, v53, 2.0, -v64
	v_fma_f32 v51, v72, 2.0, -v71
	ds_write2_b32 v86, v60, v77 offset0:24 offset1:240
	v_fma_f32 v53, v62, 2.0, -v49
	v_fma_f32 v60, v79, 2.0, -v50
	;; [unrolled: 1-line block ×3, first 2 shown]
	v_sub_f32_e32 v47, v48, v47
	v_sub_f32_e32 v62, v64, v69
	v_sub_f32_e32 v51, v53, v51
	v_sub_f32_e32 v63, v49, v73
	v_sub_f32_e32 v61, v60, v61
	v_sub_f32_e32 v52, v50, v52
	v_fma_f32 v48, v48, 2.0, -v47
	v_fma_f32 v64, v64, 2.0, -v62
	;; [unrolled: 1-line block ×6, first 2 shown]
	ds_write2_b32 v87, v48, v64 offset1:216
	ds_write2_b32 v5, v47, v62 offset0:16 offset1:232
	ds_write2_b32 v88, v53, v49 offset1:216
	ds_write2_b32 v89, v51, v63 offset0:16 offset1:232
	ds_write2_b32 v90, v60, v50 offset0:32 offset1:248
	;; [unrolled: 1-line block ×3, first 2 shown]
	s_waitcnt lgkmcnt(0)
	s_barrier
	buffer_gl0_inv
	s_and_saveexec_b32 s0, vcc_lo
	s_cbranch_execz .LBB0_15
; %bb.14:
	v_mul_i32_i24_e32 v5, 3, v59
	v_add_co_u32 v49, vcc_lo, 0x1800, v40
	v_add_co_ci_u32_e32 v50, vcc_lo, 0, v41, vcc_lo
	v_lshlrev_b64 v[47:48], 3, v[5:6]
	v_mul_i32_i24_e32 v5, 3, v55
	v_mul_i32_i24_e32 v89, 0xffffffec, v57
	;; [unrolled: 1-line block ×3, first 2 shown]
	v_mul_lo_u32 v91, s5, v3
	v_mul_lo_u32 v92, s4, v4
	v_add_co_u32 v53, vcc_lo, s12, v47
	v_add_co_ci_u32_e32 v64, vcc_lo, s13, v48, vcc_lo
	global_load_dwordx4 v[47:50], v[49:50], off offset:720
	v_add_co_u32 v51, vcc_lo, 0x1800, v53
	v_add_co_ci_u32_e32 v52, vcc_lo, 0, v64, vcc_lo
	v_add_co_u32 v40, vcc_lo, 0x1ad0, v40
	v_add_co_ci_u32_e32 v41, vcc_lo, 0, v41, vcc_lo
	v_add_co_u32 v63, vcc_lo, 0x1ad0, v53
	s_clause 0x1
	global_load_dwordx4 v[59:62], v[51:52], off offset:720
	global_load_dwordx2 v[40:41], v[40:41], off offset:16
	v_lshlrev_b64 v[51:52], 3, v[5:6]
	v_add_co_ci_u32_e32 v64, vcc_lo, 0, v64, vcc_lo
	v_mul_i32_i24_e32 v5, 3, v58
	v_mad_u64_u32 v[3:4], null, s4, v3, 0
	v_add_co_u32 v53, vcc_lo, s12, v51
	v_add_co_ci_u32_e32 v55, vcc_lo, s13, v52, vcc_lo
	global_load_dwordx2 v[51:52], v[63:64], off offset:16
	v_add_co_u32 v63, vcc_lo, 0x1800, v53
	v_lshlrev_b64 v[69:70], 3, v[5:6]
	v_add_co_ci_u32_e32 v64, vcc_lo, 0, v55, vcc_lo
	v_add_co_u32 v67, vcc_lo, 0x1ad0, v53
	v_add_co_ci_u32_e32 v68, vcc_lo, 0, v55, vcc_lo
	v_add_co_u32 v5, vcc_lo, s12, v69
	v_add_co_ci_u32_e32 v53, vcc_lo, s13, v70, vcc_lo
	s_clause 0x1
	global_load_dwordx4 v[63:66], v[63:64], off offset:720
	global_load_dwordx2 v[79:80], v[67:68], off offset:16
	v_add_co_u32 v67, vcc_lo, 0x1800, v5
	v_add_co_ci_u32_e32 v68, vcc_lo, 0, v53, vcc_lo
	v_add_co_u32 v71, vcc_lo, 0x1ad0, v5
	v_add_co_ci_u32_e32 v72, vcc_lo, 0, v53, vcc_lo
	v_mul_i32_i24_e32 v5, 3, v57
	global_load_dwordx4 v[67:70], v[67:68], off offset:720
	v_add_nc_u32_e32 v93, 0x90, v54
	global_load_dwordx2 v[81:82], v[71:72], off offset:16
	v_add_nc_u32_e32 v94, 0x120, v54
	v_lshlrev_b64 v[71:72], 3, v[5:6]
	v_add3_u32 v4, v4, v92, v91
	v_lshlrev_b64 v[1:2], 3, v[1:2]
	v_add_nc_u32_e32 v106, v29, v89
	v_lshrrev_b32_e32 v95, 5, v94
	v_add_nc_u32_e32 v45, v45, v90
	v_add_co_u32 v5, vcc_lo, s12, v71
	v_add_co_ci_u32_e32 v53, vcc_lo, s13, v72, vcc_lo
	v_mul_hi_u32 v105, 0x97b425f, v95
	v_add_co_u32 v71, vcc_lo, 0x1800, v5
	v_add_co_ci_u32_e32 v72, vcc_lo, 0, v53, vcc_lo
	v_add_co_u32 v75, vcc_lo, 0x1ad0, v5
	v_mul_i32_i24_e32 v5, 3, v56
	v_add_co_ci_u32_e32 v76, vcc_lo, 0, v53, vcc_lo
	global_load_dwordx4 v[71:74], v[71:72], off offset:720
	v_lshlrev_b64 v[3:4], 3, v[3:4]
	v_lshlrev_b64 v[5:6], 3, v[5:6]
	global_load_dwordx2 v[83:84], v[75:76], off offset:16
	v_mul_u32_u24_e32 v29, 0x360, v105
	v_add_co_u32 v53, vcc_lo, s12, v5
	v_add_co_ci_u32_e32 v55, vcc_lo, s13, v6, vcc_lo
	v_sub_nc_u32_e32 v107, v94, v29
	v_add_co_u32 v5, vcc_lo, 0x1800, v53
	v_add_co_ci_u32_e32 v6, vcc_lo, 0, v55, vcc_lo
	v_add_co_u32 v85, vcc_lo, 0x1ad0, v53
	v_add_co_ci_u32_e32 v86, vcc_lo, 0, v55, vcc_lo
	s_clause 0x1
	global_load_dwordx4 v[75:78], v[5:6], off offset:720
	global_load_dwordx2 v[5:6], v[85:86], off offset:16
	v_mul_i32_i24_e32 v53, 0xffffffec, v56
	ds_read2_b32 v[55:56], v36 offset1:144
	ds_read2_b32 v[57:58], v34 offset0:32 offset1:176
	ds_read2_b32 v[34:35], v35 offset0:96 offset1:240
	v_lshrrev_b32_e32 v36, 5, v54
	ds_read2_b32 v[85:86], v33 offset0:96 offset1:240
	ds_read2_b32 v[87:88], v30 offset1:144
	ds_read2_b32 v[32:33], v32 offset0:64 offset1:208
	v_add_nc_u32_e32 v53, v0, v53
	v_mad_u32_u24 v105, 0xd80, v105, v107
	v_mul_hi_u32 v30, 0x97b425f, v36
	v_lshrrev_b32_e32 v36, 5, v93
	v_mul_hi_u32 v36, 0x97b425f, v36
	v_mul_u32_u24_e32 v30, 0x360, v30
	v_sub_nc_u32_e32 v95, v54, v30
	v_mul_u32_u24_e32 v0, 0x360, v36
	v_add_co_u32 v30, vcc_lo, s10, v3
	v_add_co_ci_u32_e32 v89, vcc_lo, s11, v4, vcc_lo
	v_add_nc_u32_e32 v97, 0x360, v95
	v_mad_u64_u32 v[3:4], null, s2, v95, 0
	v_sub_nc_u32_e32 v91, v93, v0
	v_add_co_u32 v0, vcc_lo, v30, v1
	v_mad_u64_u32 v[29:30], null, s2, v97, 0
	v_add_nc_u32_e32 v98, 0x6c0, v95
	v_add_co_ci_u32_e32 v1, vcc_lo, v89, v2, vcc_lo
	v_mov_b32_e32 v2, v4
	v_add_nc_u32_e32 v99, 0xa20, v95
	v_mad_u64_u32 v[89:90], null, s2, v98, 0
	v_mov_b32_e32 v4, v30
	v_mad_u32_u24 v108, 0xd80, v36, v91
	v_mad_u64_u32 v[95:96], null, s3, v95, v[2:3]
	v_mad_u64_u32 v[91:92], null, s2, v99, 0
	v_add_nc_u32_e32 v104, 0x360, v108
	v_mov_b32_e32 v2, v90
	v_mad_u64_u32 v[93:94], null, s2, v108, 0
	v_add_nc_u32_e32 v109, 0x6c0, v108
	v_add_nc_u32_e32 v107, 0xa20, v108
	v_mad_u64_u32 v[102:103], null, s2, v109, 0
	v_mov_b32_e32 v36, v94
	s_waitcnt vmcnt(0)
	v_mad_u64_u32 v[96:97], null, s3, v97, v[4:5]
	v_mov_b32_e32 v4, v95
	v_mad_u64_u32 v[97:98], null, s3, v98, v[2:3]
	v_mov_b32_e32 v2, v92
	v_mov_b32_e32 v30, v96
	v_mad_u64_u32 v[95:96], null, s2, v104, 0
	v_mad_u64_u32 v[98:99], null, s3, v99, v[2:3]
	v_lshlrev_b64 v[2:3], 3, v[3:4]
	v_mov_b32_e32 v90, v97
	v_mad_u64_u32 v[99:100], null, s3, v108, v[36:37]
	v_mov_b32_e32 v4, v96
	ds_read2_b32 v[100:101], v27 offset0:64 offset1:208
	v_mov_b32_e32 v92, v98
	v_mov_b32_e32 v27, v103
	v_add_co_u32 v2, vcc_lo, v0, v2
	v_mad_u64_u32 v[96:97], null, s3, v104, v[4:5]
	ds_read2_b32 v[97:98], v25 offset0:96 offset1:240
	v_mad_u64_u32 v[103:104], null, s3, v109, v[27:28]
	v_mov_b32_e32 v94, v99
	ds_read2_b32 v[25:26], v26 offset0:32 offset1:176
	ds_read_b32 v99, v28
	ds_read_b32 v104, v37
	;; [unrolled: 1-line block ×6, first 2 shown]
	v_lshlrev_b64 v[27:28], 3, v[29:30]
	v_lshlrev_b64 v[29:30], 3, v[89:90]
	v_mul_f32_e32 v45, v7, v50
	v_lshlrev_b64 v[36:37], 3, v[91:92]
	s_waitcnt lgkmcnt(13)
	v_mul_f32_e32 v91, v60, v58
	v_add_co_ci_u32_e32 v3, vcc_lo, v1, v3, vcc_lo
	v_add_co_u32 v27, vcc_lo, v0, v27
	s_waitcnt lgkmcnt(8)
	v_mul_f32_e32 v90, v100, v50
	v_fma_f32 v45, v49, v100, -v45
	v_add_co_ci_u32_e32 v28, vcc_lo, v1, v28, vcc_lo
	v_add_co_u32 v29, vcc_lo, v0, v29
	s_waitcnt lgkmcnt(7)
	v_mul_f32_e32 v89, v48, v97
	v_mul_f32_e32 v48, v9, v48
	v_fmac_f32_e32 v90, v7, v49
	v_lshlrev_b64 v[49:50], 3, v[93:94]
	v_add_co_ci_u32_e32 v30, vcc_lo, v1, v30, vcc_lo
	v_fmac_f32_e32 v89, v9, v47
	v_mul_f32_e32 v9, v20, v62
	v_mul_f32_e32 v62, v56, v62
	v_fma_f32 v7, v47, v97, -v48
	v_mul_f32_e32 v47, v24, v60
	s_waitcnt lgkmcnt(6)
	v_mul_f32_e32 v60, v41, v25
	v_fma_f32 v9, v61, v56, -v9
	v_fmac_f32_e32 v62, v20, v61
	v_mul_f32_e32 v20, v11, v41
	v_fmac_f32_e32 v91, v24, v59
	v_fmac_f32_e32 v60, v11, v40
	v_fma_f32 v56, v59, v58, -v47
	v_add_co_u32 v24, vcc_lo, v0, v36
	v_fma_f32 v11, v40, v25, -v20
	s_waitcnt lgkmcnt(3)
	v_sub_f32_e32 v20, v4, v45
	v_sub_f32_e32 v45, v89, v60
	;; [unrolled: 1-line block ×3, first 2 shown]
	v_mad_u64_u32 v[47:48], null, s2, v107, 0
	v_sub_f32_e32 v11, v7, v11
	v_fma_f32 v59, v4, 2.0, -v20
	v_add_co_ci_u32_e32 v25, vcc_lo, v1, v37, vcc_lo
	v_add_co_u32 v36, vcc_lo, v0, v49
	v_fma_f32 v4, v7, 2.0, -v11
	v_add_co_ci_u32_e32 v37, vcc_lo, v1, v50, vcc_lo
	v_add_f32_e32 v40, v58, v11
	v_fma_f32 v7, v46, 2.0, -v58
	v_fma_f32 v11, v89, 2.0, -v45
	v_mul_f32_e32 v60, v52, v35
	v_mul_f32_e32 v52, v22, v52
	v_sub_f32_e32 v50, v59, v4
	v_mul_f32_e32 v4, v19, v66
	v_sub_f32_e32 v41, v20, v45
	v_fma_f32 v45, v58, 2.0, -v40
	v_sub_f32_e32 v49, v7, v11
	v_fmac_f32_e32 v60, v22, v51
	v_fma_f32 v11, v51, v35, -v52
	v_mul_f32_e32 v35, v64, v57
	v_mul_f32_e32 v51, v80, v34
	v_fma_f32 v52, v65, v55, -v4
	v_mul_f32_e32 v55, v55, v66
	v_mul_f32_e32 v58, v23, v64
	v_mov_b32_e32 v4, v48
	v_mul_f32_e32 v48, v21, v80
	v_fma_f32 v46, v20, 2.0, -v41
	v_fmac_f32_e32 v35, v23, v63
	v_fmac_f32_e32 v51, v21, v79
	v_fma_f32 v21, v59, 2.0, -v50
	v_fma_f32 v20, v7, 2.0, -v49
	v_sub_f32_e32 v7, v99, v9
	v_sub_f32_e32 v9, v91, v60
	;; [unrolled: 1-line block ×4, first 2 shown]
	v_fmac_f32_e32 v55, v19, v65
	v_fma_f32 v57, v63, v57, -v58
	v_fma_f32 v19, v79, v34, -v48
	v_mul_f32_e32 v34, v14, v70
	v_mul_f32_e32 v48, v68, v88
	;; [unrolled: 1-line block ×6, first 2 shown]
	global_store_dwordx2 v[2:3], v[20:21], off
	global_store_dwordx2 v[27:28], v[45:46], off
	;; [unrolled: 1-line block ×4, first 2 shown]
	v_add_f32_e32 v2, v59, v11
	v_fma_f32 v27, v99, 2.0, -v7
	v_fma_f32 v11, v56, 2.0, -v11
	v_fma_f32 v28, v44, 2.0, -v59
	v_sub_f32_e32 v29, v104, v52
	v_sub_f32_e32 v30, v35, v51
	;; [unrolled: 1-line block ×4, first 2 shown]
	v_fma_f32 v34, v69, v86, -v34
	v_fmac_f32_e32 v48, v16, v67
	v_fmac_f32_e32 v58, v18, v81
	;; [unrolled: 1-line block ×3, first 2 shown]
	v_fma_f32 v44, v67, v88, -v61
	v_fma_f32 v14, v81, v33, -v62
	v_mul_f32_e32 v45, v84, v32
	v_mul_f32_e32 v49, v15, v72
	;; [unrolled: 1-line block ×3, first 2 shown]
	v_sub_f32_e32 v3, v7, v9
	v_fma_f32 v9, v91, 2.0, -v9
	v_mul_f32_e32 v16, v13, v74
	v_mul_f32_e32 v46, v85, v74
	v_sub_f32_e32 v21, v27, v11
	v_sub_f32_e32 v25, v29, v30
	v_add_f32_e32 v24, v40, v41
	v_fma_f32 v11, v57, 2.0, -v41
	v_fma_f32 v30, v35, 2.0, -v30
	s_waitcnt lgkmcnt(2)
	v_sub_f32_e32 v34, v31, v34
	v_sub_f32_e32 v35, v48, v58
	;; [unrolled: 1-line block ×3, first 2 shown]
	v_fmac_f32_e32 v45, v17, v83
	v_fma_f32 v17, v71, v87, -v49
	v_fma_f32 v32, v83, v32, -v50
	v_mul_f32_e32 v49, v8, v78
	v_mul_f32_e32 v50, v76, v98
	;; [unrolled: 1-line block ×7, first 2 shown]
	v_sub_f32_e32 v20, v28, v9
	v_fma_f32 v9, v104, 2.0, -v29
	v_fma_f32 v41, v43, 2.0, -v40
	v_sub_f32_e32 v43, v42, v60
	v_fma_f32 v52, v73, v85, -v16
	v_fmac_f32_e32 v46, v13, v73
	v_fma_f32 v14, v29, 2.0, -v25
	v_fma_f32 v13, v40, 2.0, -v24
	;; [unrolled: 1-line block ×5, first 2 shown]
	v_fma_f32 v48, v77, v101, -v49
	v_fmac_f32_e32 v50, v10, v75
	v_fmac_f32_e32 v55, v12, v5
	;; [unrolled: 1-line block ×3, first 2 shown]
	v_fma_f32 v12, v75, v98, -v57
	v_fma_f32 v5, v5, v26, -v58
	v_fmac_f32_e32 v33, v15, v71
	v_fma_f32 v6, v28, 2.0, -v20
	v_sub_f32_e32 v15, v41, v30
	v_sub_f32_e32 v28, v34, v35
	v_fma_f32 v42, v42, 2.0, -v43
	s_waitcnt lgkmcnt(1)
	v_sub_f32_e32 v35, v106, v52
	v_sub_f32_e32 v30, v40, v29
	s_waitcnt lgkmcnt(0)
	v_sub_f32_e32 v52, v53, v48
	v_sub_f32_e32 v48, v50, v55
	;; [unrolled: 1-line block ×4, first 2 shown]
	v_fma_f32 v19, v7, 2.0, -v3
	v_fma_f32 v7, v27, 2.0, -v21
	v_sub_f32_e32 v16, v9, v11
	v_add_f32_e32 v27, v43, v51
	v_sub_f32_e32 v44, v33, v45
	v_sub_f32_e32 v45, v39, v46
	;; [unrolled: 1-line block ×3, first 2 shown]
	v_fma_f32 v11, v34, 2.0, -v28
	v_sub_f32_e32 v29, v42, v31
	v_fma_f32 v34, v40, 2.0, -v30
	v_fma_f32 v49, v53, 2.0, -v52
	;; [unrolled: 1-line block ×6, first 2 shown]
	v_sub_f32_e32 v32, v35, v44
	v_add_f32_e32 v31, v45, v46
	v_fma_f32 v44, v33, 2.0, -v44
	v_fma_f32 v33, v42, 2.0, -v29
	v_sub_f32_e32 v43, v49, v12
	v_sub_f32_e32 v42, v51, v40
	v_fma_f32 v17, v17, 2.0, -v46
	v_fma_f32 v46, v39, 2.0, -v45
	;; [unrolled: 1-line block ×3, first 2 shown]
	v_sub_f32_e32 v45, v52, v48
	v_fma_f32 v49, v49, 2.0, -v43
	v_fma_f32 v48, v51, 2.0, -v42
	;; [unrolled: 1-line block ×4, first 2 shown]
	v_add_nc_u32_e32 v12, 0x360, v105
	v_sub_f32_e32 v40, v46, v44
	global_store_dwordx2 v[36:37], v[48:49], off
	v_mad_u64_u32 v[35:36], null, s2, v105, 0
	v_add_f32_e32 v44, v55, v5
	v_mad_u64_u32 v[4:5], null, s3, v107, v[4:5]
	v_mad_u64_u32 v[57:58], null, s2, v12, 0
	v_fma_f32 v8, v41, 2.0, -v15
	v_mov_b32_e32 v5, v36
	v_sub_f32_e32 v41, v26, v17
	v_add_nc_u32_e32 v17, 0x6c0, v105
	v_mov_b32_e32 v48, v4
	v_lshlrev_b64 v[22:23], 3, v[95:96]
	v_mad_u64_u32 v[4:5], null, s3, v105, v[5:6]
	v_mov_b32_e32 v5, v58
	v_fma_f32 v50, v46, 2.0, -v40
	v_lshlrev_b64 v[46:47], 3, v[47:48]
	v_mad_u64_u32 v[48:49], null, s2, v17, 0
	v_fma_f32 v53, v52, 2.0, -v45
	v_mov_b32_e32 v36, v4
	v_mad_u64_u32 v[4:5], null, s3, v12, v[5:6]
	v_add_nc_u32_e32 v12, 0x1b0, v54
	v_fma_f32 v52, v55, 2.0, -v44
	v_lshlrev_b64 v[55:56], 3, v[102:103]
	v_add_co_u32 v22, vcc_lo, v0, v22
	v_lshrrev_b32_e32 v5, 5, v12
	v_fma_f32 v51, v26, 2.0, -v41
	v_add_co_ci_u32_e32 v23, vcc_lo, v1, v23, vcc_lo
	v_add_co_u32 v55, vcc_lo, v0, v55
	v_mul_hi_u32 v26, 0x97b425f, v5
	v_mov_b32_e32 v58, v4
	v_mov_b32_e32 v4, v49
	v_add_nc_u32_e32 v37, 0xa20, v105
	v_add_co_ci_u32_e32 v56, vcc_lo, v1, v56, vcc_lo
	global_store_dwordx2 v[22:23], v[52:53], off
	global_store_dwordx2 v[55:56], v[42:43], off
	v_lshlrev_b64 v[22:23], 3, v[35:36]
	v_mad_u64_u32 v[4:5], null, s3, v17, v[4:5]
	v_mad_u64_u32 v[42:43], null, s2, v37, 0
	v_mul_u32_u24_e32 v5, 0x360, v26
	v_add_co_u32 v46, vcc_lo, v0, v46
	v_lshlrev_b64 v[35:36], 3, v[57:58]
	v_add_co_ci_u32_e32 v47, vcc_lo, v1, v47, vcc_lo
	v_add_co_u32 v22, vcc_lo, v0, v22
	v_sub_nc_u32_e32 v5, v12, v5
	v_add_co_ci_u32_e32 v23, vcc_lo, v1, v23, vcc_lo
	v_mov_b32_e32 v49, v4
	v_mov_b32_e32 v4, v43
	v_add_co_u32 v35, vcc_lo, v0, v35
	v_add_co_ci_u32_e32 v36, vcc_lo, v1, v36, vcc_lo
	v_mad_u32_u24 v17, 0xd80, v26, v5
	v_mad_u64_u32 v[4:5], null, s3, v37, v[4:5]
	global_store_dwordx2 v[46:47], v[44:45], off
	global_store_dwordx2 v[22:23], v[50:51], off
	;; [unrolled: 1-line block ×3, first 2 shown]
	v_mad_u64_u32 v[35:36], null, s2, v17, 0
	v_add_nc_u32_e32 v39, 0x240, v54
	v_mov_b32_e32 v43, v4
	v_add_nc_u32_e32 v46, 0x6c0, v17
	v_add_nc_u32_e32 v26, 0x360, v17
	v_lshlrev_b64 v[22:23], 3, v[48:49]
	v_fma_f32 v18, v59, 2.0, -v2
	v_mov_b32_e32 v12, v36
	v_lshrrev_b32_e32 v36, 5, v39
	v_lshlrev_b64 v[37:38], 3, v[42:43]
	v_mad_u64_u32 v[42:43], null, s2, v46, 0
	v_mad_u64_u32 v[4:5], null, s2, v26, 0
	;; [unrolled: 1-line block ×3, first 2 shown]
	v_mul_hi_u32 v47, 0x97b425f, v36
	v_add_co_u32 v22, vcc_lo, v0, v22
	v_mov_b32_e32 v12, v43
	v_add_co_ci_u32_e32 v23, vcc_lo, v1, v23, vcc_lo
	v_add_co_u32 v37, vcc_lo, v0, v37
	v_mov_b32_e32 v36, v44
	v_mad_u64_u32 v[43:44], null, s3, v26, v[5:6]
	v_mul_u32_u24_e32 v5, 0x360, v47
	v_add_nc_u32_e32 v17, 0xa20, v17
	v_add_co_ci_u32_e32 v38, vcc_lo, v1, v38, vcc_lo
	v_mad_u64_u32 v[44:45], null, s3, v46, v[12:13]
	v_sub_nc_u32_e32 v12, v39, v5
	global_store_dwordx2 v[22:23], v[40:41], off
	global_store_dwordx2 v[37:38], v[31:32], off
	v_mad_u64_u32 v[31:32], null, s2, v17, 0
	v_mov_b32_e32 v5, v43
	v_mad_u32_u24 v26, 0xd80, v47, v12
	v_mov_b32_e32 v43, v44
	v_lshlrev_b64 v[22:23], 3, v[35:36]
	v_fma_f32 v9, v9, 2.0, -v16
	v_lshlrev_b64 v[4:5], 3, v[4:5]
	v_mov_b32_e32 v12, v32
	v_lshlrev_b64 v[35:36], 3, v[42:43]
	v_add_nc_u32_e32 v42, 0x360, v26
	v_mad_u64_u32 v[37:38], null, s2, v26, 0
	v_mad_u64_u32 v[39:40], null, s3, v17, v[12:13]
	;; [unrolled: 1-line block ×3, first 2 shown]
	v_add_co_u32 v22, vcc_lo, v0, v22
	v_mov_b32_e32 v12, v38
	v_add_co_ci_u32_e32 v23, vcc_lo, v1, v23, vcc_lo
	v_add_co_u32 v4, vcc_lo, v0, v4
	v_mov_b32_e32 v17, v41
	v_mov_b32_e32 v32, v39
	v_mad_u64_u32 v[38:39], null, s3, v26, v[12:13]
	v_add_co_ci_u32_e32 v5, vcc_lo, v1, v5, vcc_lo
	v_add_nc_u32_e32 v39, 0x6c0, v26
	v_add_co_u32 v35, vcc_lo, v0, v35
	v_mad_u64_u32 v[41:42], null, s3, v42, v[17:18]
	v_add_nc_u32_e32 v17, 0x2d0, v54
	v_add_co_ci_u32_e32 v36, vcc_lo, v1, v36, vcc_lo
	v_mad_u64_u32 v[42:43], null, s2, v39, 0
	global_store_dwordx2 v[22:23], v[33:34], off
	global_store_dwordx2 v[4:5], v[10:11], off
	;; [unrolled: 1-line block ×3, first 2 shown]
	v_lshrrev_b32_e32 v11, 5, v17
	v_lshlrev_b64 v[4:5], 3, v[31:32]
	v_lshlrev_b64 v[22:23], 3, v[40:41]
	v_add_nc_u32_e32 v26, 0xa20, v26
	v_mul_hi_u32 v31, 0x97b425f, v11
	v_lshlrev_b64 v[11:12], 3, v[37:38]
	v_mov_b32_e32 v10, v43
	v_add_co_u32 v4, vcc_lo, v0, v4
	v_add_co_ci_u32_e32 v5, vcc_lo, v1, v5, vcc_lo
	v_mad_u64_u32 v[29:30], null, s3, v39, v[10:11]
	v_mul_u32_u24_e32 v30, 0x360, v31
	v_add_co_u32 v10, vcc_lo, v0, v11
	v_add_co_ci_u32_e32 v11, vcc_lo, v1, v12, vcc_lo
	v_sub_nc_u32_e32 v12, v17, v30
	v_add_co_u32 v22, vcc_lo, v0, v22
	v_add_co_ci_u32_e32 v23, vcc_lo, v1, v23, vcc_lo
	v_mad_u32_u24 v17, 0xd80, v31, v12
	v_mov_b32_e32 v43, v29
	v_mad_u64_u32 v[29:30], null, s2, v26, 0
	global_store_dwordx2 v[4:5], v[27:28], off
	global_store_dwordx2 v[10:11], v[8:9], off
	;; [unrolled: 1-line block ×3, first 2 shown]
	v_add_nc_u32_e32 v27, 0x360, v17
	v_mad_u64_u32 v[8:9], null, s2, v17, 0
	v_lshlrev_b64 v[4:5], 3, v[42:43]
	v_add_nc_u32_e32 v28, 0x6c0, v17
	v_mad_u64_u32 v[11:12], null, s2, v27, 0
	v_mov_b32_e32 v10, v30
	v_mad_u64_u32 v[22:23], null, s2, v28, 0
	v_add_co_u32 v4, vcc_lo, v0, v4
	v_mad_u64_u32 v[13:14], null, s3, v26, v[10:11]
	v_mad_u64_u32 v[9:10], null, s3, v17, v[9:10]
	v_add_nc_u32_e32 v17, 0xa20, v17
	v_add_co_ci_u32_e32 v5, vcc_lo, v1, v5, vcc_lo
	v_mov_b32_e32 v10, v12
	v_mov_b32_e32 v30, v13
	v_mad_u64_u32 v[13:14], null, s2, v17, 0
	global_store_dwordx2 v[4:5], v[15:16], off
	v_mov_b32_e32 v4, v23
	v_mad_u64_u32 v[26:27], null, s3, v27, v[10:11]
	v_lshlrev_b64 v[15:16], 3, v[29:30]
	v_lshlrev_b64 v[8:9], 3, v[8:9]
	v_mad_u64_u32 v[4:5], null, s3, v28, v[4:5]
	v_mov_b32_e32 v5, v14
	v_mov_b32_e32 v12, v26
	v_add_co_u32 v15, vcc_lo, v0, v15
	v_mad_u64_u32 v[26:27], null, s3, v17, v[5:6]
	v_mov_b32_e32 v23, v4
	v_add_co_ci_u32_e32 v16, vcc_lo, v1, v16, vcc_lo
	v_lshlrev_b64 v[10:11], 3, v[11:12]
	v_add_co_u32 v4, vcc_lo, v0, v8
	v_mov_b32_e32 v14, v26
	v_add_co_ci_u32_e32 v5, vcc_lo, v1, v9, vcc_lo
	v_lshlrev_b64 v[8:9], 3, v[22:23]
	v_add_co_u32 v10, vcc_lo, v0, v10
	v_lshlrev_b64 v[12:13], 3, v[13:14]
	v_add_co_ci_u32_e32 v11, vcc_lo, v1, v11, vcc_lo
	v_add_co_u32 v8, vcc_lo, v0, v8
	v_add_co_ci_u32_e32 v9, vcc_lo, v1, v9, vcc_lo
	v_add_co_u32 v0, vcc_lo, v0, v12
	v_add_co_ci_u32_e32 v1, vcc_lo, v1, v13, vcc_lo
	global_store_dwordx2 v[15:16], v[24:25], off
	global_store_dwordx2 v[4:5], v[6:7], off
	global_store_dwordx2 v[10:11], v[18:19], off
	global_store_dwordx2 v[8:9], v[20:21], off
	global_store_dwordx2 v[0:1], v[2:3], off
.LBB0_15:
	s_endpgm
	.section	.rodata,"a",@progbits
	.p2align	6, 0x0
	.amdhsa_kernel fft_rtc_back_len3456_factors_6_6_6_4_4_wgs_144_tpt_144_halfLds_sp_op_CI_CI_sbrr_dirReg
		.amdhsa_group_segment_fixed_size 0
		.amdhsa_private_segment_fixed_size 0
		.amdhsa_kernarg_size 104
		.amdhsa_user_sgpr_count 6
		.amdhsa_user_sgpr_private_segment_buffer 1
		.amdhsa_user_sgpr_dispatch_ptr 0
		.amdhsa_user_sgpr_queue_ptr 0
		.amdhsa_user_sgpr_kernarg_segment_ptr 1
		.amdhsa_user_sgpr_dispatch_id 0
		.amdhsa_user_sgpr_flat_scratch_init 0
		.amdhsa_user_sgpr_private_segment_size 0
		.amdhsa_wavefront_size32 1
		.amdhsa_uses_dynamic_stack 0
		.amdhsa_system_sgpr_private_segment_wavefront_offset 0
		.amdhsa_system_sgpr_workgroup_id_x 1
		.amdhsa_system_sgpr_workgroup_id_y 0
		.amdhsa_system_sgpr_workgroup_id_z 0
		.amdhsa_system_sgpr_workgroup_info 0
		.amdhsa_system_vgpr_workitem_id 0
		.amdhsa_next_free_vgpr 116
		.amdhsa_next_free_sgpr 31
		.amdhsa_reserve_vcc 1
		.amdhsa_reserve_flat_scratch 0
		.amdhsa_float_round_mode_32 0
		.amdhsa_float_round_mode_16_64 0
		.amdhsa_float_denorm_mode_32 3
		.amdhsa_float_denorm_mode_16_64 3
		.amdhsa_dx10_clamp 1
		.amdhsa_ieee_mode 1
		.amdhsa_fp16_overflow 0
		.amdhsa_workgroup_processor_mode 1
		.amdhsa_memory_ordered 1
		.amdhsa_forward_progress 0
		.amdhsa_shared_vgpr_count 0
		.amdhsa_exception_fp_ieee_invalid_op 0
		.amdhsa_exception_fp_denorm_src 0
		.amdhsa_exception_fp_ieee_div_zero 0
		.amdhsa_exception_fp_ieee_overflow 0
		.amdhsa_exception_fp_ieee_underflow 0
		.amdhsa_exception_fp_ieee_inexact 0
		.amdhsa_exception_int_div_zero 0
	.end_amdhsa_kernel
	.text
.Lfunc_end0:
	.size	fft_rtc_back_len3456_factors_6_6_6_4_4_wgs_144_tpt_144_halfLds_sp_op_CI_CI_sbrr_dirReg, .Lfunc_end0-fft_rtc_back_len3456_factors_6_6_6_4_4_wgs_144_tpt_144_halfLds_sp_op_CI_CI_sbrr_dirReg
                                        ; -- End function
	.section	.AMDGPU.csdata,"",@progbits
; Kernel info:
; codeLenInByte = 14372
; NumSgprs: 33
; NumVgprs: 116
; ScratchSize: 0
; MemoryBound: 0
; FloatMode: 240
; IeeeMode: 1
; LDSByteSize: 0 bytes/workgroup (compile time only)
; SGPRBlocks: 4
; VGPRBlocks: 14
; NumSGPRsForWavesPerEU: 33
; NumVGPRsForWavesPerEU: 116
; Occupancy: 8
; WaveLimiterHint : 1
; COMPUTE_PGM_RSRC2:SCRATCH_EN: 0
; COMPUTE_PGM_RSRC2:USER_SGPR: 6
; COMPUTE_PGM_RSRC2:TRAP_HANDLER: 0
; COMPUTE_PGM_RSRC2:TGID_X_EN: 1
; COMPUTE_PGM_RSRC2:TGID_Y_EN: 0
; COMPUTE_PGM_RSRC2:TGID_Z_EN: 0
; COMPUTE_PGM_RSRC2:TIDIG_COMP_CNT: 0
	.text
	.p2alignl 6, 3214868480
	.fill 48, 4, 3214868480
	.type	__hip_cuid_1cb08dc7d4baa345,@object ; @__hip_cuid_1cb08dc7d4baa345
	.section	.bss,"aw",@nobits
	.globl	__hip_cuid_1cb08dc7d4baa345
__hip_cuid_1cb08dc7d4baa345:
	.byte	0                               ; 0x0
	.size	__hip_cuid_1cb08dc7d4baa345, 1

	.ident	"AMD clang version 19.0.0git (https://github.com/RadeonOpenCompute/llvm-project roc-6.4.0 25133 c7fe45cf4b819c5991fe208aaa96edf142730f1d)"
	.section	".note.GNU-stack","",@progbits
	.addrsig
	.addrsig_sym __hip_cuid_1cb08dc7d4baa345
	.amdgpu_metadata
---
amdhsa.kernels:
  - .args:
      - .actual_access:  read_only
        .address_space:  global
        .offset:         0
        .size:           8
        .value_kind:     global_buffer
      - .offset:         8
        .size:           8
        .value_kind:     by_value
      - .actual_access:  read_only
        .address_space:  global
        .offset:         16
        .size:           8
        .value_kind:     global_buffer
      - .actual_access:  read_only
        .address_space:  global
        .offset:         24
        .size:           8
        .value_kind:     global_buffer
      - .actual_access:  read_only
        .address_space:  global
        .offset:         32
        .size:           8
        .value_kind:     global_buffer
      - .offset:         40
        .size:           8
        .value_kind:     by_value
      - .actual_access:  read_only
        .address_space:  global
        .offset:         48
        .size:           8
        .value_kind:     global_buffer
      - .actual_access:  read_only
        .address_space:  global
        .offset:         56
        .size:           8
        .value_kind:     global_buffer
      - .offset:         64
        .size:           4
        .value_kind:     by_value
      - .actual_access:  read_only
        .address_space:  global
        .offset:         72
        .size:           8
        .value_kind:     global_buffer
      - .actual_access:  read_only
        .address_space:  global
        .offset:         80
        .size:           8
        .value_kind:     global_buffer
      - .actual_access:  read_only
        .address_space:  global
        .offset:         88
        .size:           8
        .value_kind:     global_buffer
      - .actual_access:  write_only
        .address_space:  global
        .offset:         96
        .size:           8
        .value_kind:     global_buffer
    .group_segment_fixed_size: 0
    .kernarg_segment_align: 8
    .kernarg_segment_size: 104
    .language:       OpenCL C
    .language_version:
      - 2
      - 0
    .max_flat_workgroup_size: 144
    .name:           fft_rtc_back_len3456_factors_6_6_6_4_4_wgs_144_tpt_144_halfLds_sp_op_CI_CI_sbrr_dirReg
    .private_segment_fixed_size: 0
    .sgpr_count:     33
    .sgpr_spill_count: 0
    .symbol:         fft_rtc_back_len3456_factors_6_6_6_4_4_wgs_144_tpt_144_halfLds_sp_op_CI_CI_sbrr_dirReg.kd
    .uniform_work_group_size: 1
    .uses_dynamic_stack: false
    .vgpr_count:     116
    .vgpr_spill_count: 0
    .wavefront_size: 32
    .workgroup_processor_mode: 1
amdhsa.target:   amdgcn-amd-amdhsa--gfx1030
amdhsa.version:
  - 1
  - 2
...

	.end_amdgpu_metadata
